;; amdgpu-corpus repo=ROCm/rocFFT kind=compiled arch=gfx950 opt=O3
	.text
	.amdgcn_target "amdgcn-amd-amdhsa--gfx950"
	.amdhsa_code_object_version 6
	.protected	fft_rtc_back_len289_factors_17_17_wgs_119_tpt_17_dp_op_CI_CI_sbcc_dirReg_intrinsicReadWrite ; -- Begin function fft_rtc_back_len289_factors_17_17_wgs_119_tpt_17_dp_op_CI_CI_sbcc_dirReg_intrinsicReadWrite
	.globl	fft_rtc_back_len289_factors_17_17_wgs_119_tpt_17_dp_op_CI_CI_sbcc_dirReg_intrinsicReadWrite
	.p2align	8
	.type	fft_rtc_back_len289_factors_17_17_wgs_119_tpt_17_dp_op_CI_CI_sbcc_dirReg_intrinsicReadWrite,@function
fft_rtc_back_len289_factors_17_17_wgs_119_tpt_17_dp_op_CI_CI_sbcc_dirReg_intrinsicReadWrite: ; @fft_rtc_back_len289_factors_17_17_wgs_119_tpt_17_dp_op_CI_CI_sbcc_dirReg_intrinsicReadWrite
; %bb.0:
	s_load_dwordx4 s[16:19], s[0:1], 0x18
	s_load_dwordx2 s[26:27], s[0:1], 0x28
	s_mov_b32 s3, 0
	s_mov_b64 s[20:21], 0
	s_waitcnt lgkmcnt(0)
	s_load_dwordx2 s[24:25], s[16:17], 0x8
	s_waitcnt lgkmcnt(0)
	s_add_u32 s4, s24, -1
	s_addc_u32 s5, s25, -1
	s_add_u32 s6, 0, 0x92481000
	s_addc_u32 s7, 0, 0x64
	s_mul_hi_u32 s9, s6, -7
	s_add_i32 s7, s7, 0x249248c0
	s_sub_i32 s9, s9, s6
	s_mul_i32 s12, s7, -7
	s_mul_i32 s8, s6, -7
	s_add_i32 s9, s9, s12
	s_mul_hi_u32 s10, s7, s8
	s_mul_i32 s11, s7, s8
	s_mul_i32 s13, s6, s9
	s_mul_hi_u32 s8, s6, s8
	s_mul_hi_u32 s12, s6, s9
	s_add_u32 s8, s8, s13
	s_addc_u32 s12, 0, s12
	s_add_u32 s8, s8, s11
	s_mul_hi_u32 s13, s7, s9
	s_addc_u32 s8, s12, s10
	s_addc_u32 s10, s13, 0
	s_mul_i32 s9, s7, s9
	s_add_u32 s8, s8, s9
	v_mov_b32_e32 v1, s8
	s_addc_u32 s9, 0, s10
	v_add_co_u32_e32 v1, vcc, s6, v1
	s_cmp_lg_u64 vcc, 0
	s_addc_u32 s6, s7, s9
	v_readfirstlane_b32 s9, v1
	s_mul_i32 s8, s4, s6
	s_mul_hi_u32 s10, s4, s9
	s_mul_hi_u32 s7, s4, s6
	s_add_u32 s8, s10, s8
	s_addc_u32 s7, 0, s7
	s_mul_hi_u32 s11, s5, s9
	s_mul_i32 s9, s5, s9
	s_add_u32 s8, s8, s9
	s_mul_hi_u32 s10, s5, s6
	s_addc_u32 s7, s7, s11
	s_addc_u32 s8, s10, 0
	s_mul_i32 s6, s5, s6
	s_add_u32 s6, s7, s6
	s_addc_u32 s7, 0, s8
	s_add_u32 s8, s6, 1
	s_addc_u32 s9, s7, 0
	s_add_u32 s10, s6, 2
	s_mul_i32 s12, s7, 7
	s_mul_hi_u32 s13, s6, 7
	s_addc_u32 s11, s7, 0
	s_add_i32 s13, s13, s12
	s_mul_i32 s12, s6, 7
	v_mov_b32_e32 v1, s12
	v_sub_co_u32_e32 v1, vcc, s4, v1
	s_cmp_lg_u64 vcc, 0
	s_subb_u32 s4, s5, s13
	v_subrev_co_u32_e32 v2, vcc, 7, v1
	s_cmp_lg_u64 vcc, 0
	s_subb_u32 s5, s4, 0
	v_readfirstlane_b32 s12, v2
	s_cmp_gt_u32 s12, 6
	s_cselect_b32 s12, -1, 0
	s_cmp_eq_u32 s5, 0
	s_cselect_b32 s5, s12, -1
	s_cmp_lg_u32 s5, 0
	s_cselect_b32 s5, s10, s8
	s_cselect_b32 s8, s11, s9
	v_readfirstlane_b32 s9, v1
	s_cmp_gt_u32 s9, 6
	s_cselect_b32 s9, -1, 0
	s_cmp_eq_u32 s4, 0
	s_cselect_b32 s4, s9, -1
	s_cmp_lg_u32 s4, 0
	s_cselect_b32 s5, s5, s6
	s_cselect_b32 s4, s8, s7
	s_add_u32 s28, s5, 1
	s_addc_u32 s29, s4, 0
	v_mov_b64_e32 v[2:3], s[28:29]
	v_cmp_lt_u64_e32 vcc, s[2:3], v[2:3]
	s_cbranch_vccnz .LBB0_2
; %bb.1:
	v_cvt_f32_u32_e32 v1, s28
	s_sub_i32 s4, 0, s28
	s_mov_b32 s21, s3
	v_rcp_iflag_f32_e32 v1, v1
	s_nop 0
	v_mul_f32_e32 v1, 0x4f7ffffe, v1
	v_cvt_u32_f32_e32 v1, v1
	s_nop 0
	v_readfirstlane_b32 s5, v1
	s_mul_i32 s4, s4, s5
	s_mul_hi_u32 s4, s5, s4
	s_add_i32 s5, s5, s4
	s_mul_hi_u32 s4, s2, s5
	s_mul_i32 s6, s4, s28
	s_sub_i32 s6, s2, s6
	s_add_i32 s5, s4, 1
	s_sub_i32 s7, s6, s28
	s_cmp_ge_u32 s6, s28
	s_cselect_b32 s4, s5, s4
	s_cselect_b32 s6, s7, s6
	s_add_i32 s5, s4, 1
	s_cmp_ge_u32 s6, s28
	s_cselect_b32 s20, s5, s4
.LBB0_2:
	s_load_dwordx4 s[4:7], s[0:1], 0x60
	s_load_dwordx4 s[12:15], s[18:19], 0x0
	;; [unrolled: 1-line block ×3, first 2 shown]
	s_load_dwordx2 s[22:23], s[0:1], 0x0
	s_load_dwordx2 s[34:35], s[0:1], 0x10
	s_mul_i32 s0, s20, s29
	s_mul_hi_u32 s1, s20, s28
	s_add_i32 s1, s1, s0
	s_mul_i32 s0, s20, s28
	s_sub_u32 s0, s2, s0
	s_subb_u32 s1, 0, s1
	s_mul_i32 s1, s1, 7
	s_waitcnt lgkmcnt(0)
	s_mul_hi_u32 s9, s0, 7
	s_add_i32 s31, s9, s1
	s_mul_i32 s30, s0, 7
	s_mul_i32 s0, s14, s31
	s_mul_hi_u32 s1, s14, s30
	s_add_i32 s0, s1, s0
	s_mul_i32 s1, s15, s30
	s_add_i32 s15, s0, s1
	s_mul_i32 s0, s10, s31
	s_mul_hi_u32 s1, s10, s30
	s_add_i32 s0, s1, s0
	s_mul_i32 s1, s11, s30
	s_add_i32 s11, s0, s1
	v_cmp_lt_u64_e64 s[0:1], s[34:35], 3
	s_mul_i32 s13, s14, s30
	s_mul_i32 s9, s10, s30
	s_and_b64 vcc, exec, s[0:1]
	s_cbranch_vccnz .LBB0_12
; %bb.3:
	s_add_u32 s36, s26, 16
	s_addc_u32 s37, s27, 0
	s_add_u32 s38, s18, 16
	s_addc_u32 s39, s19, 0
	;; [unrolled: 2-line block ×3, first 2 shown]
	s_mov_b64 s[40:41], 2
	s_mov_b32 s42, 0
	v_mov_b64_e32 v[2:3], s[34:35]
.LBB0_4:                                ; =>This Inner Loop Header: Depth=1
	s_load_dwordx2 s[44:45], s[16:17], 0x0
	s_waitcnt lgkmcnt(0)
	s_or_b64 s[0:1], s[20:21], s[44:45]
	s_mov_b32 s43, s1
	s_cmp_lg_u64 s[42:43], 0
	s_cbranch_scc0 .LBB0_9
; %bb.5:                                ;   in Loop: Header=BB0_4 Depth=1
	v_cvt_f32_u32_e32 v1, s44
	v_cvt_f32_u32_e32 v4, s45
	s_sub_u32 s0, 0, s44
	s_subb_u32 s1, 0, s45
	v_fmac_f32_e32 v1, 0x4f800000, v4
	v_rcp_f32_e32 v1, v1
	s_nop 0
	v_mul_f32_e32 v1, 0x5f7ffffc, v1
	v_mul_f32_e32 v4, 0x2f800000, v1
	v_trunc_f32_e32 v4, v4
	v_fmac_f32_e32 v1, 0xcf800000, v4
	v_cvt_u32_f32_e32 v4, v4
	v_cvt_u32_f32_e32 v1, v1
	v_readfirstlane_b32 s33, v4
	v_readfirstlane_b32 s43, v1
	s_mul_i32 s46, s0, s33
	s_mul_hi_u32 s48, s0, s43
	s_mul_i32 s47, s1, s43
	s_add_i32 s46, s48, s46
	s_mul_i32 s49, s0, s43
	s_add_i32 s46, s46, s47
	s_mul_hi_u32 s47, s43, s46
	s_mul_i32 s48, s43, s46
	s_mul_hi_u32 s43, s43, s49
	s_add_u32 s43, s43, s48
	s_addc_u32 s47, 0, s47
	s_mul_hi_u32 s50, s33, s49
	s_mul_i32 s49, s33, s49
	s_add_u32 s43, s43, s49
	s_mul_hi_u32 s48, s33, s46
	s_addc_u32 s43, s47, s50
	s_addc_u32 s47, s48, 0
	s_mul_i32 s46, s33, s46
	s_add_u32 s43, s43, s46
	s_addc_u32 s46, 0, s47
	v_add_co_u32_e32 v1, vcc, s43, v1
	s_cmp_lg_u64 vcc, 0
	s_addc_u32 s33, s33, s46
	v_readfirstlane_b32 s46, v1
	s_mul_i32 s43, s0, s33
	s_mul_hi_u32 s47, s0, s46
	s_add_i32 s43, s47, s43
	s_mul_i32 s1, s1, s46
	s_add_i32 s43, s43, s1
	s_mul_i32 s0, s0, s46
	s_mul_hi_u32 s47, s33, s0
	s_mul_i32 s48, s33, s0
	s_mul_i32 s50, s46, s43
	s_mul_hi_u32 s0, s46, s0
	s_mul_hi_u32 s49, s46, s43
	s_add_u32 s0, s0, s50
	s_addc_u32 s46, 0, s49
	s_add_u32 s0, s0, s48
	s_mul_hi_u32 s1, s33, s43
	s_addc_u32 s0, s46, s47
	s_addc_u32 s1, s1, 0
	s_mul_i32 s43, s33, s43
	s_add_u32 s0, s0, s43
	s_addc_u32 s1, 0, s1
	v_add_co_u32_e32 v1, vcc, s0, v1
	s_cmp_lg_u64 vcc, 0
	s_addc_u32 s0, s33, s1
	v_readfirstlane_b32 s43, v1
	s_mul_i32 s33, s20, s0
	s_mul_hi_u32 s46, s20, s43
	s_mul_hi_u32 s1, s20, s0
	s_add_u32 s33, s46, s33
	s_addc_u32 s1, 0, s1
	s_mul_hi_u32 s47, s21, s43
	s_mul_i32 s43, s21, s43
	s_add_u32 s33, s33, s43
	s_mul_hi_u32 s46, s21, s0
	s_addc_u32 s1, s1, s47
	s_addc_u32 s33, s46, 0
	s_mul_i32 s0, s21, s0
	s_add_u32 s43, s1, s0
	s_addc_u32 s33, 0, s33
	s_mul_i32 s0, s44, s33
	s_mul_hi_u32 s1, s44, s43
	s_add_i32 s0, s1, s0
	s_mul_i32 s1, s45, s43
	s_add_i32 s46, s0, s1
	s_mul_i32 s1, s44, s43
	v_mov_b32_e32 v1, s1
	s_sub_i32 s0, s21, s46
	v_sub_co_u32_e32 v1, vcc, s20, v1
	s_cmp_lg_u64 vcc, 0
	s_subb_u32 s47, s0, s45
	v_subrev_co_u32_e64 v4, s[0:1], s44, v1
	s_cmp_lg_u64 s[0:1], 0
	s_subb_u32 s0, s47, 0
	s_cmp_ge_u32 s0, s45
	v_readfirstlane_b32 s47, v4
	s_cselect_b32 s1, -1, 0
	s_cmp_ge_u32 s47, s44
	s_cselect_b32 s47, -1, 0
	s_cmp_eq_u32 s0, s45
	s_cselect_b32 s0, s47, s1
	s_add_u32 s1, s43, 1
	s_addc_u32 s47, s33, 0
	s_add_u32 s48, s43, 2
	s_addc_u32 s49, s33, 0
	s_cmp_lg_u32 s0, 0
	s_cselect_b32 s0, s48, s1
	s_cselect_b32 s1, s49, s47
	s_cmp_lg_u64 vcc, 0
	s_subb_u32 s46, s21, s46
	s_cmp_ge_u32 s46, s45
	v_readfirstlane_b32 s48, v1
	s_cselect_b32 s47, -1, 0
	s_cmp_ge_u32 s48, s44
	s_cselect_b32 s48, -1, 0
	s_cmp_eq_u32 s46, s45
	s_cselect_b32 s46, s48, s47
	s_cmp_lg_u32 s46, 0
	s_cselect_b32 s1, s1, s33
	s_cselect_b32 s0, s0, s43
	s_cbranch_execnz .LBB0_7
.LBB0_6:                                ;   in Loop: Header=BB0_4 Depth=1
	v_cvt_f32_u32_e32 v1, s44
	s_sub_i32 s0, 0, s44
	v_rcp_iflag_f32_e32 v1, v1
	s_nop 0
	v_mul_f32_e32 v1, 0x4f7ffffe, v1
	v_cvt_u32_f32_e32 v1, v1
	s_nop 0
	v_readfirstlane_b32 s1, v1
	s_mul_i32 s0, s0, s1
	s_mul_hi_u32 s0, s1, s0
	s_add_i32 s1, s1, s0
	s_mul_hi_u32 s0, s20, s1
	s_mul_i32 s33, s0, s44
	s_sub_i32 s33, s20, s33
	s_add_i32 s1, s0, 1
	s_sub_i32 s43, s33, s44
	s_cmp_ge_u32 s33, s44
	s_cselect_b32 s0, s1, s0
	s_cselect_b32 s33, s43, s33
	s_add_i32 s1, s0, 1
	s_cmp_ge_u32 s33, s44
	s_cselect_b32 s0, s1, s0
	s_mov_b32 s1, s42
.LBB0_7:                                ;   in Loop: Header=BB0_4 Depth=1
	s_mul_i32 s29, s44, s29
	s_mul_hi_u32 s33, s44, s28
	s_add_i32 s29, s33, s29
	s_mul_i32 s33, s45, s28
	s_add_i32 s29, s29, s33
	s_mul_i32 s33, s0, s45
	s_mul_hi_u32 s43, s0, s44
	s_load_dwordx2 s[46:47], s[38:39], 0x0
	s_add_i32 s33, s43, s33
	s_mul_i32 s43, s1, s44
	s_add_i32 s33, s33, s43
	s_mul_i32 s43, s0, s44
	s_sub_u32 s43, s20, s43
	s_subb_u32 s33, s21, s33
	s_waitcnt lgkmcnt(0)
	s_mul_i32 s20, s46, s33
	s_mul_hi_u32 s21, s46, s43
	s_mul_i32 s28, s44, s28
	s_add_i32 s44, s21, s20
	s_load_dwordx2 s[20:21], s[36:37], 0x0
	s_mul_i32 s45, s47, s43
	s_add_i32 s44, s44, s45
	s_mul_i32 s45, s46, s43
	s_add_u32 s13, s45, s13
	s_addc_u32 s15, s44, s15
	s_waitcnt lgkmcnt(0)
	s_mul_i32 s33, s20, s33
	s_mul_hi_u32 s44, s20, s43
	s_add_i32 s33, s44, s33
	s_mul_i32 s21, s21, s43
	s_add_i32 s33, s33, s21
	s_mul_i32 s20, s20, s43
	s_add_u32 s9, s20, s9
	s_addc_u32 s11, s33, s11
	s_add_u32 s40, s40, 1
	s_addc_u32 s41, s41, 0
	;; [unrolled: 2-line block ×4, first 2 shown]
	s_add_u32 s16, s16, 8
	v_cmp_ge_u64_e32 vcc, s[40:41], v[2:3]
	s_addc_u32 s17, s17, 0
	s_cbranch_vccnz .LBB0_10
; %bb.8:                                ;   in Loop: Header=BB0_4 Depth=1
	s_mov_b64 s[20:21], s[0:1]
	s_branch .LBB0_4
.LBB0_9:                                ;   in Loop: Header=BB0_4 Depth=1
                                        ; implicit-def: $sgpr0_sgpr1
	s_branch .LBB0_6
.LBB0_10:
	v_mov_b64_e32 v[2:3], s[28:29]
	v_cmp_lt_u64_e32 vcc, s[2:3], v[2:3]
	s_mov_b64 s[20:21], 0
	s_cbranch_vccnz .LBB0_12
; %bb.11:
	v_cvt_f32_u32_e32 v1, s28
	s_sub_i32 s0, 0, s28
	v_rcp_iflag_f32_e32 v1, v1
	s_nop 0
	v_mul_f32_e32 v1, 0x4f7ffffe, v1
	v_cvt_u32_f32_e32 v1, v1
	s_nop 0
	v_readfirstlane_b32 s1, v1
	s_mul_i32 s0, s0, s1
	s_mul_hi_u32 s0, s1, s0
	s_add_i32 s1, s1, s0
	s_mul_hi_u32 s0, s2, s1
	s_mul_i32 s3, s0, s28
	s_sub_i32 s2, s2, s3
	s_add_i32 s1, s0, 1
	s_sub_i32 s3, s2, s28
	s_cmp_ge_u32 s2, s28
	s_cselect_b32 s0, s1, s0
	s_cselect_b32 s2, s3, s2
	s_add_i32 s1, s0, 1
	s_cmp_ge_u32 s2, s28
	s_cselect_b32 s20, s1, s0
.LBB0_12:
	s_lshl_b64 s[0:1], s[34:35], 3
	s_add_u32 s2, s18, s0
	s_addc_u32 s3, s19, s1
	s_load_dwordx2 s[2:3], s[2:3], 0x0
	v_mul_u32_u24_e32 v1, 0x2493, v0
	v_lshrrev_b32_e32 v1, 16, v1
	v_mul_lo_u16_e32 v2, 7, v1
	v_sub_u16_e32 v74, v0, v2
	s_waitcnt lgkmcnt(0)
	s_mul_i32 s2, s2, s20
	s_add_u32 s2, s2, s13
	s_add_u32 s54, s26, s0
	s_addc_u32 s55, s27, s1
	s_mov_b32 s0, 0
	v_mov_b32_e32 v75, s0
	s_add_u32 s0, s30, 7
	s_addc_u32 s1, s31, 0
	v_mov_b64_e32 v[2:3], s[24:25]
	v_cmp_le_u64_e32 vcc, s[0:1], v[2:3]
	v_mad_u64_u32 v[2:3], s[0:1], s14, v74, 0
	v_lshl_add_u64 v[4:5], s[30:31], 0, v[74:75]
	v_cmp_gt_u64_e64 s[0:1], s[24:25], v[4:5]
	v_mov_b64_e32 v[56:57], 0
	s_or_b64 s[44:45], vcc, s[0:1]
	v_mov_b64_e32 v[8:9], v[56:57]
	v_mov_b64_e32 v[6:7], v[56:57]
	s_and_saveexec_b64 s[0:1], s[44:45]
	s_cbranch_execz .LBB0_14
; %bb.13:
	v_mul_lo_u32 v3, s12, v1
	v_add3_u32 v4, s2, v2, v3
	v_mov_b32_e32 v5, 0
	v_lshl_add_u64 v[4:5], v[4:5], 4, s[4:5]
	global_load_dwordx4 v[6:9], v[4:5], off
.LBB0_14:
	s_or_b64 exec, exec, s[0:1]
	v_mov_b64_e32 v[54:55], v[56:57]
	s_and_saveexec_b64 s[0:1], s[44:45]
	s_cbranch_execz .LBB0_16
; %bb.15:
	v_add_u32_e32 v3, 17, v1
	v_mul_lo_u32 v3, s12, v3
	v_add3_u32 v4, s2, v2, v3
	v_mov_b32_e32 v5, 0
	v_lshl_add_u64 v[4:5], v[4:5], 4, s[4:5]
	global_load_dwordx4 v[54:57], v[4:5], off
.LBB0_16:
	s_or_b64 exec, exec, s[0:1]
	v_mov_b64_e32 v[44:45], 0
	v_mov_b64_e32 v[48:49], v[44:45]
	v_mov_b64_e32 v[46:47], v[44:45]
	s_and_saveexec_b64 s[0:1], s[44:45]
	s_cbranch_execz .LBB0_18
; %bb.17:
	v_add_u32_e32 v3, 34, v1
	v_mul_lo_u32 v3, s12, v3
	v_add3_u32 v4, s2, v2, v3
	v_mov_b32_e32 v5, 0
	v_lshl_add_u64 v[4:5], v[4:5], 4, s[4:5]
	global_load_dwordx4 v[46:49], v[4:5], off
.LBB0_18:
	s_or_b64 exec, exec, s[0:1]
	v_mov_b64_e32 v[42:43], v[44:45]
	s_and_saveexec_b64 s[0:1], s[44:45]
	s_cbranch_execz .LBB0_20
; %bb.19:
	v_add_u32_e32 v3, 51, v1
	v_mul_lo_u32 v3, s12, v3
	v_add3_u32 v4, s2, v2, v3
	v_mov_b32_e32 v5, 0
	v_lshl_add_u64 v[4:5], v[4:5], 4, s[4:5]
	global_load_dwordx4 v[42:45], v[4:5], off
.LBB0_20:
	s_or_b64 exec, exec, s[0:1]
	v_mov_b64_e32 v[28:29], 0
	v_mov_b64_e32 v[36:37], v[28:29]
	v_mov_b64_e32 v[34:35], v[28:29]
	s_and_saveexec_b64 s[0:1], s[44:45]
	s_cbranch_execz .LBB0_22
; %bb.21:
	v_add_u32_e32 v3, 0x44, v1
	v_mul_lo_u32 v3, s12, v3
	v_add3_u32 v4, s2, v2, v3
	v_mov_b32_e32 v5, 0
	v_lshl_add_u64 v[4:5], v[4:5], 4, s[4:5]
	global_load_dwordx4 v[34:37], v[4:5], off
.LBB0_22:
	s_or_b64 exec, exec, s[0:1]
	v_mov_b64_e32 v[26:27], v[28:29]
	s_and_saveexec_b64 s[0:1], s[44:45]
	s_cbranch_execz .LBB0_24
; %bb.23:
	v_add_u32_e32 v3, 0x55, v1
	v_mul_lo_u32 v3, s12, v3
	v_add3_u32 v4, s2, v2, v3
	v_mov_b32_e32 v5, 0
	v_lshl_add_u64 v[4:5], v[4:5], 4, s[4:5]
	global_load_dwordx4 v[26:29], v[4:5], off
.LBB0_24:
	s_or_b64 exec, exec, s[0:1]
	v_mov_b64_e32 v[20:21], 0
	v_mov_b64_e32 v[24:25], v[20:21]
	v_mov_b64_e32 v[22:23], v[20:21]
	s_and_saveexec_b64 s[0:1], s[44:45]
	s_cbranch_execz .LBB0_26
; %bb.25:
	v_add_u32_e32 v3, 0x66, v1
	v_mul_lo_u32 v3, s12, v3
	v_add3_u32 v4, s2, v2, v3
	v_mov_b32_e32 v5, 0
	v_lshl_add_u64 v[4:5], v[4:5], 4, s[4:5]
	global_load_dwordx4 v[22:25], v[4:5], off
.LBB0_26:
	s_or_b64 exec, exec, s[0:1]
	v_mov_b64_e32 v[18:19], v[20:21]
	s_and_saveexec_b64 s[0:1], s[44:45]
	s_cbranch_execz .LBB0_28
; %bb.27:
	v_add_u32_e32 v3, 0x77, v1
	v_mul_lo_u32 v3, s12, v3
	v_add3_u32 v4, s2, v2, v3
	v_mov_b32_e32 v5, 0
	v_lshl_add_u64 v[4:5], v[4:5], 4, s[4:5]
	global_load_dwordx4 v[18:21], v[4:5], off
.LBB0_28:
	s_or_b64 exec, exec, s[0:1]
	v_mov_b64_e32 v[12:13], 0
	v_mov_b64_e32 v[16:17], v[12:13]
	v_mov_b64_e32 v[14:15], v[12:13]
	s_and_saveexec_b64 s[0:1], s[44:45]
	s_cbranch_execz .LBB0_30
; %bb.29:
	v_add_u32_e32 v3, 0x88, v1
	v_mul_lo_u32 v3, s12, v3
	v_add3_u32 v4, s2, v2, v3
	v_mov_b32_e32 v5, 0
	v_lshl_add_u64 v[4:5], v[4:5], 4, s[4:5]
	global_load_dwordx4 v[14:17], v[4:5], off
.LBB0_30:
	s_or_b64 exec, exec, s[0:1]
	v_mov_b64_e32 v[10:11], v[12:13]
	s_and_saveexec_b64 s[0:1], s[44:45]
	s_cbranch_execz .LBB0_32
; %bb.31:
	v_add_u32_e32 v3, 0x99, v1
	v_mul_lo_u32 v3, s12, v3
	v_add3_u32 v4, s2, v2, v3
	v_mov_b32_e32 v5, 0
	v_lshl_add_u64 v[4:5], v[4:5], 4, s[4:5]
	global_load_dwordx4 v[10:13], v[4:5], off
.LBB0_32:
	s_or_b64 exec, exec, s[0:1]
	v_mov_b64_e32 v[40:41], 0
	v_mov_b64_e32 v[32:33], v[40:41]
	v_mov_b64_e32 v[30:31], v[40:41]
	s_and_saveexec_b64 s[0:1], s[44:45]
	s_cbranch_execz .LBB0_34
; %bb.33:
	v_add_u32_e32 v3, 0xaa, v1
	v_mul_lo_u32 v3, s12, v3
	v_add3_u32 v4, s2, v2, v3
	v_mov_b32_e32 v5, 0
	v_lshl_add_u64 v[4:5], v[4:5], 4, s[4:5]
	global_load_dwordx4 v[30:33], v[4:5], off
.LBB0_34:
	s_or_b64 exec, exec, s[0:1]
	v_mov_b64_e32 v[38:39], v[40:41]
	s_and_saveexec_b64 s[0:1], s[44:45]
	s_cbranch_execz .LBB0_36
; %bb.35:
	v_add_u32_e32 v3, 0xbb, v1
	v_mul_lo_u32 v3, s12, v3
	v_add3_u32 v4, s2, v2, v3
	v_mov_b32_e32 v5, 0
	v_lshl_add_u64 v[4:5], v[4:5], 4, s[4:5]
	global_load_dwordx4 v[38:41], v[4:5], off
.LBB0_36:
	s_or_b64 exec, exec, s[0:1]
	v_mov_b64_e32 v[60:61], 0
	v_mov_b64_e32 v[52:53], v[60:61]
	v_mov_b64_e32 v[50:51], v[60:61]
	s_and_saveexec_b64 s[0:1], s[44:45]
	s_cbranch_execz .LBB0_38
; %bb.37:
	v_add_u32_e32 v3, 0xcc, v1
	v_mul_lo_u32 v3, s12, v3
	v_add3_u32 v4, s2, v2, v3
	v_mov_b32_e32 v5, 0
	v_lshl_add_u64 v[4:5], v[4:5], 4, s[4:5]
	global_load_dwordx4 v[50:53], v[4:5], off
.LBB0_38:
	s_or_b64 exec, exec, s[0:1]
	v_mov_b64_e32 v[58:59], v[60:61]
	s_and_saveexec_b64 s[0:1], s[44:45]
	s_cbranch_execz .LBB0_40
; %bb.39:
	v_add_u32_e32 v3, 0xdd, v1
	v_mul_lo_u32 v3, s12, v3
	v_add3_u32 v4, s2, v2, v3
	v_mov_b32_e32 v5, 0
	v_lshl_add_u64 v[4:5], v[4:5], 4, s[4:5]
	global_load_dwordx4 v[58:61], v[4:5], off
.LBB0_40:
	s_or_b64 exec, exec, s[0:1]
	v_mov_b64_e32 v[68:69], 0
	v_mov_b64_e32 v[64:65], v[68:69]
	v_mov_b64_e32 v[62:63], v[68:69]
	s_and_saveexec_b64 s[0:1], s[44:45]
	s_cbranch_execz .LBB0_42
; %bb.41:
	v_add_u32_e32 v3, 0xee, v1
	v_mul_lo_u32 v3, s12, v3
	v_add3_u32 v4, s2, v2, v3
	v_mov_b32_e32 v5, 0
	v_lshl_add_u64 v[4:5], v[4:5], 4, s[4:5]
	global_load_dwordx4 v[62:65], v[4:5], off
.LBB0_42:
	s_or_b64 exec, exec, s[0:1]
	v_mov_b64_e32 v[66:67], v[68:69]
	s_and_saveexec_b64 s[0:1], s[44:45]
	s_cbranch_execz .LBB0_44
; %bb.43:
	v_add_u32_e32 v3, 0xff, v1
	v_mul_lo_u32 v3, s12, v3
	v_add3_u32 v4, s2, v2, v3
	v_mov_b32_e32 v5, 0
	v_lshl_add_u64 v[4:5], v[4:5], 4, s[4:5]
	global_load_dwordx4 v[66:69], v[4:5], off
.LBB0_44:
	s_or_b64 exec, exec, s[0:1]
	v_mov_b64_e32 v[72:73], 0
	v_mov_b64_e32 v[70:71], v[72:73]
	s_and_saveexec_b64 s[0:1], s[44:45]
	s_cbranch_execz .LBB0_46
; %bb.45:
	v_add_u32_e32 v3, 0x110, v1
	v_mul_lo_u32 v3, s12, v3
	v_add3_u32 v2, s2, v2, v3
	v_mov_b32_e32 v3, 0
	v_lshl_add_u64 v[2:3], v[2:3], 4, s[4:5]
	global_load_dwordx4 v[70:73], v[2:3], off
.LBB0_46:
	s_or_b64 exec, exec, s[0:1]
	s_waitcnt vmcnt(0)
	v_add_f64 v[4:5], v[8:9], v[56:57]
	v_add_f64 v[2:3], v[6:7], v[54:55]
	;; [unrolled: 1-line block ×21, first 2 shown]
	s_mov_b32 s38, 0x6c9a05f6
	v_add_f64 v[2:3], v[2:3], v[38:39]
	v_add_f64 v[4:5], v[4:5], v[52:53]
	v_add_f64 v[102:103], v[56:57], -v[72:73]
	s_mov_b32 s39, 0xbfe9895b
	s_mov_b32 s16, 0x6ed5f1bb
	s_mov_b32 s42, 0x4363dd80
	v_add_f64 v[2:3], v[2:3], v[50:51]
	v_add_f64 v[4:5], v[4:5], v[60:61]
	;; [unrolled: 1-line block ×4, first 2 shown]
	v_add_f64 v[98:99], v[18:19], -v[30:31]
	s_mov_b32 s26, 0x5d8e7cdc
	s_mov_b32 s30, 0x2a9d6da3
	;; [unrolled: 1-line block ×6, first 2 shown]
	v_mul_f64 v[30:31], v[102:103], s[38:39]
	s_mov_b32 s43, 0xbfe0d888
	s_mov_b32 s18, 0x910ea3b9
	;; [unrolled: 1-line block ×3, first 2 shown]
	v_add_f64 v[2:3], v[2:3], v[58:59]
	v_add_f64 v[4:5], v[4:5], v[64:65]
	s_mov_b32 s27, 0xbfd71e95
	s_mov_b32 s0, 0x370991
	;; [unrolled: 1-line block ×10, first 2 shown]
	v_fma_f64 v[112:113], s[16:17], v[96:97], v[30:31]
	v_fma_f64 v[114:115], v[96:97], s[16:17], -v[30:31]
	s_mov_b32 s19, 0xbfeb34fa
	v_mul_f64 v[30:31], v[102:103], s[42:43]
	s_mov_b32 s41, 0xbfc7851a
	s_mov_b32 s24, 0x7faef3
	v_add_f64 v[2:3], v[2:3], v[62:63]
	v_add_f64 v[4:5], v[4:5], v[68:69]
	v_add_f64 v[94:95], v[54:55], -v[70:71]
	v_add_f64 v[78:79], v[26:27], v[50:51]
	v_add_f64 v[50:51], v[26:27], -v[50:51]
	;; [unrolled: 2-line block ×4, first 2 shown]
	s_mov_b32 s1, 0x3fedd6d0
	v_mul_f64 v[10:11], v[102:103], s[26:27]
	s_mov_b32 s3, 0x3fe7a5f6
	v_mul_f64 v[14:15], v[102:103], s[30:31]
	;; [unrolled: 2-line block ×5, first 2 shown]
	v_fma_f64 v[116:117], s[18:19], v[96:97], v[30:31]
	v_fma_f64 v[128:129], v[96:97], s[18:19], -v[30:31]
	v_mul_f64 v[30:31], v[102:103], s[40:41]
	s_mov_b32 s25, 0xbfef7484
	v_add_f64 v[2:3], v[2:3], v[66:67]
	v_add_f64 v[4:5], v[4:5], v[72:73]
	;; [unrolled: 1-line block ×4, first 2 shown]
	v_add_f64 v[48:49], v[48:49], -v[68:69]
	v_add_f64 v[68:69], v[42:43], v[62:63]
	v_add_f64 v[62:63], v[42:43], -v[62:63]
	v_add_f64 v[72:73], v[34:35], v[58:59]
	;; [unrolled: 2-line block ×6, first 2 shown]
	v_add_f64 v[110:111], v[16:17], -v[12:13]
	v_fma_f64 v[12:13], s[0:1], v[96:97], v[10:11]
	v_fma_f64 v[10:11], v[96:97], s[0:1], -v[10:11]
	v_fma_f64 v[16:17], s[2:3], v[96:97], v[14:15]
	v_fma_f64 v[14:15], v[96:97], s[2:3], -v[14:15]
	;; [unrolled: 2-line block ×6, first 2 shown]
	v_mul_f64 v[30:31], v[94:95], s[26:27]
	v_mul_f64 v[34:35], v[94:95], s[30:31]
	;; [unrolled: 1-line block ×7, first 2 shown]
	v_add_f64 v[2:3], v[2:3], v[70:71]
	v_add_f64 v[56:57], v[46:47], v[66:67]
	v_add_f64 v[46:47], v[46:47], -v[66:67]
	v_add_f64 v[66:67], v[44:45], v[64:65]
	v_add_f64 v[64:65], v[44:45], -v[64:65]
	v_add_f64 v[70:71], v[36:37], v[60:61]
	v_add_f64 v[60:61], v[36:37], -v[60:61]
	v_fma_f64 v[32:33], v[92:93], s[0:1], -v[30:31]
	v_fmac_f64_e32 v[30:31], s[0:1], v[92:93]
	v_fma_f64 v[36:37], v[92:93], s[2:3], -v[34:35]
	v_fmac_f64_e32 v[34:35], s[2:3], v[92:93]
	;; [unrolled: 2-line block ×5, first 2 shown]
	v_fma_f64 v[122:123], v[92:93], s[16:17], -v[120:121]
	v_mul_f64 v[132:133], v[94:95], s[42:43]
	v_fma_f64 v[94:95], v[92:93], s[24:25], -v[136:137]
	v_fmac_f64_e32 v[120:121], s[16:17], v[92:93]
	v_fma_f64 v[134:135], v[92:93], s[18:19], -v[132:133]
	v_fmac_f64_e32 v[132:133], s[18:19], v[92:93]
	v_fmac_f64_e32 v[136:137], s[24:25], v[92:93]
	v_add_f64 v[12:13], v[6:7], v[12:13]
	v_add_f64 v[138:139], v[8:9], v[32:33]
	;; [unrolled: 1-line block ×28, first 2 shown]
	v_mul_f64 v[6:7], v[48:49], s[30:31]
	v_add_f64 v[120:121], v[8:9], v[120:121]
	v_add_f64 v[116:117], v[8:9], v[134:135]
	;; [unrolled: 1-line block ×4, first 2 shown]
	v_fma_f64 v[8:9], s[2:3], v[56:57], v[6:7]
	v_mul_f64 v[18:19], v[46:47], s[30:31]
	v_mul_f64 v[20:21], v[64:65], s[28:29]
	v_add_f64 v[8:9], v[8:9], v[12:13]
	v_fma_f64 v[10:11], v[54:55], s[2:3], -v[18:19]
	v_fma_f64 v[12:13], s[4:5], v[68:69], v[20:21]
	v_mul_f64 v[22:23], v[62:63], s[28:29]
	v_add_f64 v[10:11], v[10:11], v[138:139]
	v_add_f64 v[8:9], v[12:13], v[8:9]
	v_fma_f64 v[12:13], v[66:67], s[4:5], -v[22:23]
	v_mul_f64 v[24:25], v[60:61], s[34:35]
	v_add_f64 v[10:11], v[12:13], v[10:11]
	v_fma_f64 v[12:13], s[12:13], v[72:73], v[24:25]
	v_mul_f64 v[26:27], v[58:59], s[34:35]
	v_add_f64 v[8:9], v[12:13], v[8:9]
	v_fma_f64 v[12:13], v[70:71], s[12:13], -v[26:27]
	v_mul_f64 v[28:29], v[52:53], s[36:37]
	v_add_f64 v[10:11], v[12:13], v[10:11]
	v_fma_f64 v[12:13], s[14:15], v[78:79], v[28:29]
	v_mul_f64 v[128:129], v[50:51], s[36:37]
	;; [unrolled: 6-line block ×3, first 2 shown]
	v_fmac_f64_e32 v[18:19], s[2:3], v[54:55]
	v_add_f64 v[8:9], v[12:13], v[8:9]
	v_fma_f64 v[12:13], v[80:81], s[16:17], -v[132:133]
	v_mul_f64 v[134:135], v[100:101], s[42:43]
	v_fma_f64 v[6:7], v[56:57], s[2:3], -v[6:7]
	v_add_f64 v[18:19], v[18:19], v[142:143]
	v_fmac_f64_e32 v[22:23], s[4:5], v[66:67]
	v_add_f64 v[10:11], v[12:13], v[10:11]
	v_fma_f64 v[12:13], s[18:19], v[90:91], v[134:135]
	v_mul_f64 v[136:137], v[98:99], s[42:43]
	v_add_f64 v[6:7], v[6:7], v[140:141]
	v_fma_f64 v[20:21], v[68:69], s[4:5], -v[20:21]
	v_add_f64 v[18:19], v[22:23], v[18:19]
	v_fmac_f64_e32 v[26:27], s[12:13], v[70:71]
	v_add_f64 v[8:9], v[12:13], v[8:9]
	v_fma_f64 v[12:13], v[88:89], s[18:19], -v[136:137]
	v_mul_f64 v[138:139], v[110:111], s[40:41]
	v_add_f64 v[6:7], v[20:21], v[6:7]
	v_fma_f64 v[20:21], v[72:73], s[12:13], -v[24:25]
	v_add_f64 v[18:19], v[26:27], v[18:19]
	v_fmac_f64_e32 v[128:129], s[14:15], v[76:77]
	v_add_f64 v[12:13], v[12:13], v[10:11]
	v_fma_f64 v[10:11], s[24:25], v[106:107], v[138:139]
	v_add_f64 v[6:7], v[20:21], v[6:7]
	v_fma_f64 v[20:21], v[78:79], s[14:15], -v[28:29]
	v_add_f64 v[18:19], v[128:129], v[18:19]
	v_fmac_f64_e32 v[132:133], s[16:17], v[80:81]
	v_add_f64 v[10:11], v[10:11], v[8:9]
	v_mul_f64 v[8:9], v[108:109], s[40:41]
	v_add_f64 v[6:7], v[20:21], v[6:7]
	v_fma_f64 v[20:21], v[82:83], s[16:17], -v[130:131]
	v_add_f64 v[18:19], v[132:133], v[18:19]
	v_fmac_f64_e32 v[136:137], s[18:19], v[88:89]
	v_fma_f64 v[156:157], v[104:105], s[24:25], -v[8:9]
	v_add_f64 v[6:7], v[20:21], v[6:7]
	v_fma_f64 v[20:21], v[90:91], s[18:19], -v[134:135]
	v_add_f64 v[18:19], v[136:137], v[18:19]
	v_fmac_f64_e32 v[8:9], s[24:25], v[104:105]
	v_mul_f64 v[22:23], v[48:49], s[34:35]
	v_add_f64 v[6:7], v[20:21], v[6:7]
	v_fma_f64 v[20:21], v[106:107], s[24:25], -v[138:139]
	v_add_f64 v[8:9], v[8:9], v[18:19]
	v_fma_f64 v[18:19], s[12:13], v[56:57], v[22:23]
	v_mul_f64 v[24:25], v[46:47], s[34:35]
	v_mul_f64 v[26:27], v[64:65], s[38:39]
	v_add_f64 v[6:7], v[20:21], v[6:7]
	v_add_f64 v[16:17], v[18:19], v[16:17]
	v_fma_f64 v[18:19], v[54:55], s[12:13], -v[24:25]
	v_fma_f64 v[20:21], s[16:17], v[68:69], v[26:27]
	v_mul_f64 v[28:29], v[62:63], s[38:39]
	v_add_f64 v[18:19], v[18:19], v[144:145]
	v_add_f64 v[16:17], v[20:21], v[16:17]
	v_fma_f64 v[20:21], v[66:67], s[16:17], -v[28:29]
	v_mul_f64 v[128:129], v[60:61], s[40:41]
	v_add_f64 v[18:19], v[20:21], v[18:19]
	v_fma_f64 v[20:21], s[24:25], v[72:73], v[128:129]
	v_mul_f64 v[130:131], v[58:59], s[40:41]
	s_mov_b32 s47, 0x3fe0d888
	s_mov_b32 s46, s42
	v_add_f64 v[16:17], v[20:21], v[16:17]
	v_fma_f64 v[20:21], v[70:71], s[24:25], -v[130:131]
	v_mul_f64 v[132:133], v[52:53], s[46:47]
	v_add_f64 v[18:19], v[20:21], v[18:19]
	v_fma_f64 v[20:21], s[18:19], v[78:79], v[132:133]
	v_mul_f64 v[134:135], v[50:51], s[46:47]
	s_mov_b32 s49, 0x3feec746
	s_mov_b32 s48, s36
	;; [unrolled: 8-line block ×3, first 2 shown]
	v_fma_f64 v[22:23], v[56:57], s[12:13], -v[22:23]
	v_fmac_f64_e32 v[24:25], s[12:13], v[54:55]
	v_add_f64 v[16:17], v[20:21], v[16:17]
	v_fma_f64 v[20:21], v[80:81], s[14:15], -v[138:139]
	v_mul_f64 v[140:141], v[100:101], s[50:51]
	v_add_f64 v[14:15], v[22:23], v[14:15]
	v_add_f64 v[22:23], v[24:25], v[146:147]
	v_fmac_f64_e32 v[28:29], s[16:17], v[66:67]
	v_add_f64 v[18:19], v[20:21], v[18:19]
	v_fma_f64 v[20:21], s[4:5], v[90:91], v[140:141]
	v_mul_f64 v[142:143], v[98:99], s[50:51]
	s_mov_b32 s53, 0x3fd71e95
	s_mov_b32 s52, s26
	v_fma_f64 v[24:25], v[68:69], s[16:17], -v[26:27]
	v_add_f64 v[22:23], v[28:29], v[22:23]
	v_fmac_f64_e32 v[130:131], s[24:25], v[70:71]
	v_add_f64 v[16:17], v[20:21], v[16:17]
	v_fma_f64 v[20:21], v[88:89], s[4:5], -v[142:143]
	v_mul_f64 v[144:145], v[110:111], s[52:53]
	v_add_f64 v[14:15], v[24:25], v[14:15]
	v_fma_f64 v[24:25], v[72:73], s[24:25], -v[128:129]
	v_add_f64 v[22:23], v[130:131], v[22:23]
	v_fmac_f64_e32 v[134:135], s[18:19], v[76:77]
	v_add_f64 v[20:21], v[20:21], v[18:19]
	v_fma_f64 v[18:19], s[0:1], v[106:107], v[144:145]
	v_add_f64 v[14:15], v[24:25], v[14:15]
	v_fma_f64 v[24:25], v[78:79], s[18:19], -v[132:133]
	v_add_f64 v[22:23], v[134:135], v[22:23]
	v_fmac_f64_e32 v[138:139], s[14:15], v[80:81]
	v_add_f64 v[18:19], v[18:19], v[16:17]
	v_mul_f64 v[16:17], v[108:109], s[52:53]
	v_add_f64 v[14:15], v[24:25], v[14:15]
	v_fma_f64 v[24:25], v[82:83], s[14:15], -v[136:137]
	v_add_f64 v[22:23], v[138:139], v[22:23]
	v_fmac_f64_e32 v[142:143], s[4:5], v[88:89]
	v_add_f64 v[12:13], v[156:157], v[12:13]
	v_fma_f64 v[156:157], v[104:105], s[0:1], -v[16:17]
	v_add_f64 v[14:15], v[24:25], v[14:15]
	v_fma_f64 v[24:25], v[90:91], s[4:5], -v[140:141]
	v_add_f64 v[22:23], v[142:143], v[22:23]
	v_fmac_f64_e32 v[16:17], s[0:1], v[104:105]
	v_add_f64 v[14:15], v[24:25], v[14:15]
	v_fma_f64 v[24:25], v[106:107], s[0:1], -v[144:145]
	v_add_f64 v[16:17], v[16:17], v[22:23]
	v_mul_f64 v[22:23], v[48:49], s[38:39]
	s_mov_b32 s57, 0x3fc7851a
	s_mov_b32 s56, s40
	v_add_f64 v[14:15], v[24:25], v[14:15]
	v_fma_f64 v[24:25], s[16:17], v[56:57], v[22:23]
	v_mul_f64 v[128:129], v[46:47], s[38:39]
	v_mul_f64 v[130:131], v[64:65], s[56:57]
	v_add_f64 v[24:25], v[24:25], v[148:149]
	v_fma_f64 v[26:27], v[54:55], s[16:17], -v[128:129]
	v_fma_f64 v[28:29], s[24:25], v[68:69], v[130:131]
	v_mul_f64 v[132:133], v[62:63], s[56:57]
	v_add_f64 v[26:27], v[26:27], v[150:151]
	v_add_f64 v[24:25], v[28:29], v[24:25]
	v_fma_f64 v[28:29], v[66:67], s[24:25], -v[132:133]
	v_mul_f64 v[134:135], v[60:61], s[48:49]
	v_add_f64 v[26:27], v[28:29], v[26:27]
	v_fma_f64 v[28:29], s[14:15], v[72:73], v[134:135]
	v_mul_f64 v[136:137], v[58:59], s[48:49]
	s_mov_b32 s59, 0x3fe58eea
	s_mov_b32 s58, s30
	v_add_f64 v[24:25], v[28:29], v[24:25]
	v_fma_f64 v[28:29], v[70:71], s[14:15], -v[136:137]
	v_mul_f64 v[138:139], v[52:53], s[58:59]
	v_add_f64 v[26:27], v[28:29], v[26:27]
	v_fma_f64 v[28:29], s[2:3], v[78:79], v[138:139]
	v_mul_f64 v[140:141], v[50:51], s[58:59]
	v_add_f64 v[24:25], v[28:29], v[24:25]
	v_fma_f64 v[28:29], v[76:77], s[2:3], -v[140:141]
	v_mul_f64 v[142:143], v[86:87], s[26:27]
	v_add_f64 v[26:27], v[28:29], v[26:27]
	v_fma_f64 v[28:29], s[0:1], v[82:83], v[142:143]
	v_mul_f64 v[144:145], v[84:85], s[26:27]
	v_fmac_f64_e32 v[128:129], s[16:17], v[54:55]
	v_add_f64 v[24:25], v[28:29], v[24:25]
	v_fma_f64 v[28:29], v[80:81], s[0:1], -v[144:145]
	v_mul_f64 v[146:147], v[100:101], s[34:35]
	v_fma_f64 v[22:23], v[56:57], s[16:17], -v[22:23]
	v_add_f64 v[128:129], v[128:129], v[154:155]
	v_fmac_f64_e32 v[132:133], s[24:25], v[66:67]
	v_add_f64 v[26:27], v[28:29], v[26:27]
	v_fma_f64 v[28:29], s[12:13], v[90:91], v[146:147]
	v_mul_f64 v[148:149], v[98:99], s[34:35]
	v_add_f64 v[22:23], v[22:23], v[152:153]
	v_fma_f64 v[130:131], v[68:69], s[24:25], -v[130:131]
	v_add_f64 v[128:129], v[132:133], v[128:129]
	v_fmac_f64_e32 v[136:137], s[14:15], v[70:71]
	v_add_f64 v[24:25], v[28:29], v[24:25]
	v_fma_f64 v[28:29], v[88:89], s[12:13], -v[148:149]
	v_mul_f64 v[150:151], v[110:111], s[42:43]
	v_add_f64 v[22:23], v[130:131], v[22:23]
	v_fma_f64 v[130:131], v[72:73], s[14:15], -v[134:135]
	v_add_f64 v[128:129], v[136:137], v[128:129]
	v_fmac_f64_e32 v[140:141], s[2:3], v[76:77]
	v_add_f64 v[28:29], v[28:29], v[26:27]
	v_fma_f64 v[26:27], s[18:19], v[106:107], v[150:151]
	v_add_f64 v[22:23], v[130:131], v[22:23]
	v_fma_f64 v[130:131], v[78:79], s[2:3], -v[138:139]
	v_add_f64 v[128:129], v[140:141], v[128:129]
	v_fmac_f64_e32 v[144:145], s[0:1], v[80:81]
	v_add_f64 v[26:27], v[26:27], v[24:25]
	v_mul_f64 v[24:25], v[108:109], s[42:43]
	v_add_f64 v[22:23], v[130:131], v[22:23]
	v_fma_f64 v[130:131], v[82:83], s[0:1], -v[142:143]
	v_add_f64 v[128:129], v[144:145], v[128:129]
	v_fmac_f64_e32 v[148:149], s[12:13], v[88:89]
	v_add_f64 v[20:21], v[156:157], v[20:21]
	v_fma_f64 v[156:157], v[104:105], s[18:19], -v[24:25]
	v_add_f64 v[22:23], v[130:131], v[22:23]
	v_fma_f64 v[130:131], v[90:91], s[12:13], -v[146:147]
	v_add_f64 v[128:129], v[148:149], v[128:129]
	v_fmac_f64_e32 v[24:25], s[18:19], v[104:105]
	v_add_f64 v[22:23], v[130:131], v[22:23]
	v_fma_f64 v[130:131], v[106:107], s[18:19], -v[150:151]
	v_add_f64 v[24:25], v[24:25], v[128:129]
	v_mul_f64 v[128:129], v[48:49], s[40:41]
	v_add_f64 v[22:23], v[130:131], v[22:23]
	v_fma_f64 v[130:131], s[24:25], v[56:57], v[128:129]
	v_add_f64 v[36:37], v[130:131], v[36:37]
	v_mul_f64 v[130:131], v[46:47], s[40:41]
	v_fma_f64 v[132:133], v[54:55], s[24:25], -v[130:131]
	v_add_f64 v[34:35], v[132:133], v[34:35]
	v_mul_f64 v[132:133], v[64:65], s[48:49]
	v_fma_f64 v[134:135], s[14:15], v[68:69], v[132:133]
	v_add_f64 v[36:37], v[134:135], v[36:37]
	v_mul_f64 v[134:135], v[62:63], s[48:49]
	v_fma_f64 v[136:137], v[66:67], s[14:15], -v[134:135]
	v_add_f64 v[34:35], v[136:137], v[34:35]
	v_mul_f64 v[136:137], v[60:61], s[52:53]
	;; [unrolled: 6-line block ×4, first 2 shown]
	v_fma_f64 v[146:147], s[18:19], v[82:83], v[144:145]
	v_add_f64 v[36:37], v[146:147], v[36:37]
	v_mul_f64 v[146:147], v[84:85], s[42:43]
	v_fma_f64 v[148:149], v[80:81], s[18:19], -v[146:147]
	s_mov_b32 s61, 0x3fe9895b
	s_mov_b32 s60, s38
	v_fma_f64 v[128:129], v[56:57], s[24:25], -v[128:129]
	v_fmac_f64_e32 v[130:131], s[24:25], v[54:55]
	v_add_f64 v[34:35], v[148:149], v[34:35]
	v_mul_f64 v[148:149], v[100:101], s[60:61]
	v_add_f64 v[32:33], v[128:129], v[32:33]
	v_add_f64 v[30:31], v[130:131], v[30:31]
	v_fma_f64 v[128:129], v[68:69], s[14:15], -v[132:133]
	v_fmac_f64_e32 v[134:135], s[14:15], v[66:67]
	v_fma_f64 v[150:151], s[16:17], v[90:91], v[148:149]
	v_add_f64 v[32:33], v[128:129], v[32:33]
	v_add_f64 v[30:31], v[134:135], v[30:31]
	v_fma_f64 v[128:129], v[72:73], s[0:1], -v[136:137]
	v_fmac_f64_e32 v[138:139], s[0:1], v[70:71]
	v_add_f64 v[36:37], v[150:151], v[36:37]
	v_mul_f64 v[150:151], v[98:99], s[60:61]
	v_add_f64 v[32:33], v[128:129], v[32:33]
	v_add_f64 v[30:31], v[138:139], v[30:31]
	v_fma_f64 v[128:129], v[78:79], s[4:5], -v[140:141]
	v_fmac_f64_e32 v[142:143], s[4:5], v[76:77]
	v_fma_f64 v[152:153], v[88:89], s[16:17], -v[150:151]
	v_mul_f64 v[154:155], v[110:111], s[58:59]
	v_add_f64 v[32:33], v[128:129], v[32:33]
	v_add_f64 v[30:31], v[142:143], v[30:31]
	v_fma_f64 v[128:129], v[82:83], s[18:19], -v[144:145]
	v_fmac_f64_e32 v[146:147], s[18:19], v[80:81]
	v_add_f64 v[28:29], v[156:157], v[28:29]
	v_add_f64 v[152:153], v[152:153], v[34:35]
	v_fma_f64 v[34:35], s[2:3], v[106:107], v[154:155]
	v_mul_f64 v[156:157], v[108:109], s[58:59]
	v_add_f64 v[32:33], v[128:129], v[32:33]
	v_add_f64 v[30:31], v[146:147], v[30:31]
	v_fma_f64 v[128:129], v[90:91], s[16:17], -v[148:149]
	v_fmac_f64_e32 v[150:151], s[16:17], v[88:89]
	v_add_f64 v[34:35], v[34:35], v[36:37]
	v_fma_f64 v[36:37], v[104:105], s[2:3], -v[156:157]
	v_add_f64 v[32:33], v[128:129], v[32:33]
	v_add_f64 v[128:129], v[150:151], v[30:31]
	v_fma_f64 v[30:31], v[106:107], s[2:3], -v[154:155]
	v_fmac_f64_e32 v[156:157], s[2:3], v[104:105]
	v_add_f64 v[30:31], v[30:31], v[32:33]
	v_add_f64 v[32:33], v[156:157], v[128:129]
	v_mul_f64 v[128:129], v[48:49], s[46:47]
	v_fma_f64 v[130:131], s[18:19], v[56:57], v[128:129]
	v_add_f64 v[44:45], v[130:131], v[44:45]
	v_mul_f64 v[130:131], v[46:47], s[46:47]
	v_fma_f64 v[132:133], v[54:55], s[18:19], -v[130:131]
	v_add_f64 v[42:43], v[132:133], v[42:43]
	v_mul_f64 v[132:133], v[64:65], s[58:59]
	v_fma_f64 v[134:135], s[2:3], v[68:69], v[132:133]
	v_add_f64 v[44:45], v[134:135], v[44:45]
	v_mul_f64 v[134:135], v[62:63], s[58:59]
	v_fma_f64 v[136:137], v[66:67], s[2:3], -v[134:135]
	;; [unrolled: 6-line block ×4, first 2 shown]
	s_mov_b32 s63, 0x3fefdd0d
	s_mov_b32 s62, s34
	v_add_f64 v[42:43], v[144:145], v[42:43]
	v_mul_f64 v[144:145], v[86:87], s[62:63]
	v_fma_f64 v[146:147], s[12:13], v[82:83], v[144:145]
	v_add_f64 v[44:45], v[146:147], v[44:45]
	v_mul_f64 v[146:147], v[84:85], s[62:63]
	v_fma_f64 v[148:149], v[80:81], s[12:13], -v[146:147]
	v_fma_f64 v[128:129], v[56:57], s[18:19], -v[128:129]
	v_fmac_f64_e32 v[130:131], s[18:19], v[54:55]
	v_add_f64 v[42:43], v[148:149], v[42:43]
	v_mul_f64 v[148:149], v[100:101], s[26:27]
	v_add_f64 v[40:41], v[128:129], v[40:41]
	v_add_f64 v[38:39], v[130:131], v[38:39]
	v_fma_f64 v[128:129], v[68:69], s[2:3], -v[132:133]
	v_fmac_f64_e32 v[134:135], s[2:3], v[66:67]
	v_fma_f64 v[150:151], s[0:1], v[90:91], v[148:149]
	v_add_f64 v[40:41], v[128:129], v[40:41]
	v_add_f64 v[38:39], v[134:135], v[38:39]
	v_fma_f64 v[128:129], v[72:73], s[4:5], -v[136:137]
	v_fmac_f64_e32 v[138:139], s[4:5], v[70:71]
	v_add_f64 v[44:45], v[150:151], v[44:45]
	v_mul_f64 v[150:151], v[98:99], s[26:27]
	v_add_f64 v[40:41], v[128:129], v[40:41]
	v_add_f64 v[38:39], v[138:139], v[38:39]
	v_fma_f64 v[128:129], v[78:79], s[24:25], -v[140:141]
	v_fmac_f64_e32 v[142:143], s[24:25], v[76:77]
	v_add_f64 v[36:37], v[36:37], v[152:153]
	v_fma_f64 v[152:153], v[88:89], s[0:1], -v[150:151]
	v_mul_f64 v[154:155], v[110:111], s[38:39]
	v_add_f64 v[40:41], v[128:129], v[40:41]
	v_add_f64 v[38:39], v[142:143], v[38:39]
	v_fma_f64 v[128:129], v[82:83], s[12:13], -v[144:145]
	v_fmac_f64_e32 v[146:147], s[12:13], v[80:81]
	v_add_f64 v[152:153], v[152:153], v[42:43]
	v_fma_f64 v[42:43], s[16:17], v[106:107], v[154:155]
	v_mul_f64 v[156:157], v[108:109], s[38:39]
	v_add_f64 v[40:41], v[128:129], v[40:41]
	v_add_f64 v[38:39], v[146:147], v[38:39]
	v_fma_f64 v[128:129], v[90:91], s[0:1], -v[148:149]
	v_fmac_f64_e32 v[150:151], s[0:1], v[88:89]
	v_add_f64 v[42:43], v[42:43], v[44:45]
	v_fma_f64 v[44:45], v[104:105], s[16:17], -v[156:157]
	v_add_f64 v[40:41], v[128:129], v[40:41]
	v_add_f64 v[128:129], v[150:151], v[38:39]
	v_fma_f64 v[38:39], v[106:107], s[16:17], -v[154:155]
	v_fmac_f64_e32 v[156:157], s[16:17], v[104:105]
	v_add_f64 v[38:39], v[38:39], v[40:41]
	v_add_f64 v[40:41], v[156:157], v[128:129]
	v_mul_f64 v[128:129], v[48:49], s[48:49]
	v_fma_f64 v[130:131], s[14:15], v[56:57], v[128:129]
	v_add_f64 v[126:127], v[130:131], v[126:127]
	v_mul_f64 v[130:131], v[46:47], s[48:49]
	v_fma_f64 v[132:133], v[54:55], s[14:15], -v[130:131]
	v_add_f64 v[124:125], v[132:133], v[124:125]
	v_mul_f64 v[132:133], v[64:65], s[26:27]
	v_fma_f64 v[134:135], s[0:1], v[68:69], v[132:133]
	v_add_f64 v[126:127], v[134:135], v[126:127]
	v_mul_f64 v[134:135], v[62:63], s[26:27]
	v_fma_f64 v[136:137], v[66:67], s[0:1], -v[134:135]
	;; [unrolled: 6-line block ×5, first 2 shown]
	v_fma_f64 v[128:129], v[56:57], s[14:15], -v[128:129]
	v_fmac_f64_e32 v[130:131], s[14:15], v[54:55]
	v_add_f64 v[124:125], v[148:149], v[124:125]
	v_mul_f64 v[148:149], v[100:101], s[40:41]
	v_add_f64 v[122:123], v[128:129], v[122:123]
	v_add_f64 v[120:121], v[130:131], v[120:121]
	v_fma_f64 v[128:129], v[68:69], s[0:1], -v[132:133]
	v_fmac_f64_e32 v[134:135], s[0:1], v[66:67]
	v_fma_f64 v[150:151], s[24:25], v[90:91], v[148:149]
	v_add_f64 v[122:123], v[128:129], v[122:123]
	v_add_f64 v[120:121], v[134:135], v[120:121]
	v_fma_f64 v[128:129], v[72:73], s[18:19], -v[136:137]
	v_fmac_f64_e32 v[138:139], s[18:19], v[70:71]
	v_add_f64 v[126:127], v[150:151], v[126:127]
	v_mul_f64 v[150:151], v[98:99], s[40:41]
	v_add_f64 v[122:123], v[128:129], v[122:123]
	v_add_f64 v[120:121], v[138:139], v[120:121]
	v_fma_f64 v[128:129], v[78:79], s[12:13], -v[140:141]
	v_fmac_f64_e32 v[142:143], s[12:13], v[76:77]
	v_add_f64 v[44:45], v[44:45], v[152:153]
	v_fma_f64 v[152:153], v[88:89], s[24:25], -v[150:151]
	v_mul_f64 v[154:155], v[110:111], s[50:51]
	v_add_f64 v[122:123], v[128:129], v[122:123]
	v_add_f64 v[120:121], v[142:143], v[120:121]
	v_fma_f64 v[128:129], v[82:83], s[2:3], -v[144:145]
	v_fmac_f64_e32 v[146:147], s[2:3], v[80:81]
	v_add_f64 v[152:153], v[152:153], v[124:125]
	v_fma_f64 v[124:125], s[4:5], v[106:107], v[154:155]
	v_mul_f64 v[156:157], v[108:109], s[50:51]
	v_add_f64 v[122:123], v[128:129], v[122:123]
	v_add_f64 v[120:121], v[146:147], v[120:121]
	v_fma_f64 v[128:129], v[90:91], s[24:25], -v[148:149]
	v_fmac_f64_e32 v[150:151], s[24:25], v[88:89]
	v_add_f64 v[124:125], v[124:125], v[126:127]
	v_fma_f64 v[126:127], v[104:105], s[4:5], -v[156:157]
	v_add_f64 v[122:123], v[128:129], v[122:123]
	v_add_f64 v[128:129], v[150:151], v[120:121]
	v_fma_f64 v[120:121], v[106:107], s[4:5], -v[154:155]
	v_fmac_f64_e32 v[156:157], s[4:5], v[104:105]
	v_add_f64 v[120:121], v[120:121], v[122:123]
	v_add_f64 v[122:123], v[156:157], v[128:129]
	v_mul_f64 v[128:129], v[48:49], s[50:51]
	v_fma_f64 v[130:131], s[4:5], v[56:57], v[128:129]
	v_add_f64 v[118:119], v[130:131], v[118:119]
	v_mul_f64 v[130:131], v[46:47], s[50:51]
	v_fma_f64 v[132:133], v[54:55], s[4:5], -v[130:131]
	v_add_f64 v[116:117], v[132:133], v[116:117]
	v_mul_f64 v[132:133], v[64:65], s[34:35]
	v_fma_f64 v[134:135], s[12:13], v[68:69], v[132:133]
	v_add_f64 v[118:119], v[134:135], v[118:119]
	v_mul_f64 v[134:135], v[62:63], s[34:35]
	v_fma_f64 v[136:137], v[66:67], s[12:13], -v[134:135]
	;; [unrolled: 6-line block ×5, first 2 shown]
	v_fma_f64 v[128:129], v[56:57], s[4:5], -v[128:129]
	v_fmac_f64_e32 v[130:131], s[4:5], v[54:55]
	v_add_f64 v[116:117], v[148:149], v[116:117]
	v_mul_f64 v[148:149], v[100:101], s[58:59]
	v_add_f64 v[114:115], v[128:129], v[114:115]
	v_add_f64 v[112:113], v[130:131], v[112:113]
	v_fma_f64 v[128:129], v[68:69], s[12:13], -v[132:133]
	v_fmac_f64_e32 v[134:135], s[12:13], v[66:67]
	v_fma_f64 v[150:151], s[2:3], v[90:91], v[148:149]
	v_add_f64 v[114:115], v[128:129], v[114:115]
	v_add_f64 v[112:113], v[134:135], v[112:113]
	v_fma_f64 v[128:129], v[72:73], s[16:17], -v[136:137]
	v_fmac_f64_e32 v[138:139], s[16:17], v[70:71]
	v_add_f64 v[118:119], v[150:151], v[118:119]
	v_mul_f64 v[150:151], v[98:99], s[58:59]
	v_add_f64 v[114:115], v[128:129], v[114:115]
	v_add_f64 v[112:113], v[138:139], v[112:113]
	v_fma_f64 v[128:129], v[78:79], s[0:1], -v[140:141]
	v_fmac_f64_e32 v[142:143], s[0:1], v[76:77]
	v_add_f64 v[126:127], v[126:127], v[152:153]
	v_fma_f64 v[152:153], v[88:89], s[2:3], -v[150:151]
	v_mul_f64 v[154:155], v[110:111], s[36:37]
	v_add_f64 v[114:115], v[128:129], v[114:115]
	v_add_f64 v[112:113], v[142:143], v[112:113]
	v_fma_f64 v[128:129], v[82:83], s[24:25], -v[144:145]
	v_fmac_f64_e32 v[146:147], s[24:25], v[80:81]
	v_add_f64 v[152:153], v[152:153], v[116:117]
	v_fma_f64 v[116:117], s[14:15], v[106:107], v[154:155]
	v_mul_f64 v[156:157], v[108:109], s[36:37]
	v_add_f64 v[114:115], v[128:129], v[114:115]
	v_add_f64 v[112:113], v[146:147], v[112:113]
	v_fma_f64 v[128:129], v[90:91], s[2:3], -v[148:149]
	v_fmac_f64_e32 v[150:151], s[2:3], v[88:89]
	v_add_f64 v[116:117], v[116:117], v[118:119]
	v_fma_f64 v[118:119], v[104:105], s[14:15], -v[156:157]
	v_add_f64 v[114:115], v[128:129], v[114:115]
	v_add_f64 v[128:129], v[150:151], v[112:113]
	v_fma_f64 v[112:113], v[106:107], s[14:15], -v[154:155]
	v_fmac_f64_e32 v[156:157], s[14:15], v[104:105]
	v_add_f64 v[112:113], v[112:113], v[114:115]
	v_add_f64 v[114:115], v[156:157], v[128:129]
	v_mul_f64 v[128:129], v[48:49], s[52:53]
	v_fma_f64 v[48:49], s[0:1], v[56:57], v[128:129]
	v_mul_f64 v[46:47], v[46:47], s[52:53]
	v_add_f64 v[48:49], v[48:49], v[102:103]
	v_fma_f64 v[102:103], v[54:55], s[0:1], -v[46:47]
	v_mul_f64 v[64:65], v[64:65], s[42:43]
	v_add_f64 v[96:97], v[102:103], v[96:97]
	v_fma_f64 v[102:103], s[18:19], v[68:69], v[64:65]
	v_mul_f64 v[62:63], v[62:63], s[42:43]
	v_add_f64 v[48:49], v[102:103], v[48:49]
	v_fma_f64 v[102:103], v[66:67], s[18:19], -v[62:63]
	v_mul_f64 v[60:61], v[60:61], s[58:59]
	v_add_f64 v[96:97], v[102:103], v[96:97]
	;; [unrolled: 6-line block ×3, first 2 shown]
	v_fma_f64 v[102:103], s[16:17], v[78:79], v[52:53]
	v_add_f64 v[48:49], v[102:103], v[48:49]
	v_mul_f64 v[102:103], v[50:51], s[38:39]
	v_fma_f64 v[50:51], v[76:77], s[16:17], -v[102:103]
	v_mul_f64 v[86:87], v[86:87], s[50:51]
	v_add_f64 v[50:51], v[50:51], v[96:97]
	v_fma_f64 v[96:97], s[4:5], v[82:83], v[86:87]
	v_mul_f64 v[84:85], v[84:85], s[50:51]
	v_add_f64 v[48:49], v[96:97], v[48:49]
	v_fma_f64 v[96:97], v[80:81], s[4:5], -v[84:85]
	v_fma_f64 v[56:57], v[56:57], s[0:1], -v[128:129]
	v_fmac_f64_e32 v[46:47], s[0:1], v[54:55]
	v_add_f64 v[50:51], v[96:97], v[50:51]
	v_mul_f64 v[96:97], v[100:101], s[36:37]
	v_add_f64 v[56:57], v[56:57], v[94:95]
	v_add_f64 v[46:47], v[46:47], v[92:93]
	v_fma_f64 v[54:55], v[68:69], s[18:19], -v[64:65]
	v_fmac_f64_e32 v[62:63], s[18:19], v[66:67]
	v_fma_f64 v[100:101], s[14:15], v[90:91], v[96:97]
	v_mul_f64 v[98:99], v[98:99], s[36:37]
	v_add_f64 v[54:55], v[54:55], v[56:57]
	v_add_f64 v[46:47], v[62:63], v[46:47]
	v_fma_f64 v[56:57], v[72:73], s[2:3], -v[60:61]
	v_fmac_f64_e32 v[58:59], s[2:3], v[70:71]
	v_add_f64 v[48:49], v[100:101], v[48:49]
	v_fma_f64 v[100:101], v[88:89], s[14:15], -v[98:99]
	v_add_f64 v[54:55], v[56:57], v[54:55]
	v_add_f64 v[46:47], v[58:59], v[46:47]
	v_fma_f64 v[52:53], v[78:79], s[16:17], -v[52:53]
	v_fmac_f64_e32 v[102:103], s[16:17], v[76:77]
	v_add_f64 v[50:51], v[100:101], v[50:51]
	v_mul_f64 v[100:101], v[110:111], s[62:63]
	v_add_f64 v[52:53], v[52:53], v[54:55]
	v_add_f64 v[46:47], v[102:103], v[46:47]
	v_fma_f64 v[54:55], v[82:83], s[4:5], -v[86:87]
	v_fmac_f64_e32 v[84:85], s[4:5], v[80:81]
	s_load_dwordx2 s[54:55], s[54:55], 0x0
	v_fma_f64 v[110:111], s[12:13], v[106:107], v[100:101]
	v_mul_f64 v[108:109], v[108:109], s[62:63]
	v_add_f64 v[52:53], v[54:55], v[52:53]
	v_add_f64 v[46:47], v[84:85], v[46:47]
	v_fma_f64 v[54:55], v[90:91], s[14:15], -v[96:97]
	v_fmac_f64_e32 v[98:99], s[14:15], v[88:89]
	v_add_f64 v[48:49], v[110:111], v[48:49]
	v_fma_f64 v[110:111], v[104:105], s[12:13], -v[108:109]
	v_add_f64 v[52:53], v[54:55], v[52:53]
	v_add_f64 v[46:47], v[98:99], v[46:47]
	v_fma_f64 v[54:55], v[106:107], s[12:13], -v[100:101]
	v_fmac_f64_e32 v[108:109], s[12:13], v[104:105]
	v_add_f64 v[52:53], v[54:55], v[52:53]
	v_add_f64 v[54:55], v[108:109], v[46:47]
	v_mul_u32_u24_e32 v47, 0x770, v1
	v_lshlrev_b32_e32 v46, 4, v74
	v_add3_u32 v47, 0, v47, v46
	v_add_f64 v[118:119], v[118:119], v[152:153]
	v_add_f64 v[50:51], v[110:111], v[50:51]
	ds_write_b128 v47, v[2:5]
	ds_write_b128 v47, v[10:13] offset:112
	ds_write_b128 v47, v[18:21] offset:224
	ds_write_b128 v47, v[26:29] offset:336
	ds_write_b128 v47, v[34:37] offset:448
	ds_write_b128 v47, v[42:45] offset:560
	ds_write_b128 v47, v[124:127] offset:672
	ds_write_b128 v47, v[116:119] offset:784
	ds_write_b128 v47, v[48:51] offset:896
	ds_write_b128 v47, v[52:55] offset:1008
	ds_write_b128 v47, v[112:115] offset:1120
	ds_write_b128 v47, v[120:123] offset:1232
	ds_write_b128 v47, v[38:41] offset:1344
	ds_write_b128 v47, v[30:33] offset:1456
	ds_write_b128 v47, v[22:25] offset:1568
	ds_write_b128 v47, v[14:17] offset:1680
	ds_write_b128 v47, v[6:9] offset:1792
	s_waitcnt lgkmcnt(0)
	s_barrier
	s_and_saveexec_b64 s[64:65], s[44:45]
	s_cbranch_execz .LBB0_48
; %bb.47:
	v_mul_lo_u16_e32 v2, 31, v1
	v_lshrrev_b16_e32 v2, 9, v2
	v_mul_lo_u16_e32 v2, 17, v2
	v_sub_u16_e32 v75, v1, v2
	v_mov_b32_e32 v2, 8
	v_lshlrev_b32_sdwa v47, v2, v75 dst_sel:DWORD dst_unused:UNUSED_PAD src0_sel:DWORD src1_sel:BYTE_0
	global_load_dwordx4 v[2:5], v47, s[22:23] offset:112
	global_load_dwordx4 v[30:33], v47, s[22:23] offset:128
	;; [unrolled: 1-line block ×12, first 2 shown]
	v_mul_u32_u24_e32 v1, 0x70, v1
	v_add3_u32 v1, 0, v1, v46
	ds_read_b128 v[52:55], v1 offset:15232
	ds_read_b128 v[56:59], v1 offset:17136
	ds_read_b128 v[88:91], v1 offset:13328
	ds_read_b128 v[92:95], v1 offset:11424
	ds_read_b128 v[96:99], v1 offset:19040
	ds_read_b128 v[100:103], v1 offset:20944
	global_load_dwordx4 v[124:127], v47, s[22:23] offset:16
	global_load_dwordx4 v[128:131], v47, s[22:23] offset:224
	ds_read_b128 v[104:107], v1 offset:9520
	ds_read_b128 v[108:111], v1 offset:7616
	;; [unrolled: 1-line block ×4, first 2 shown]
	global_load_dwordx4 v[148:151], v47, s[22:23] offset:240
	global_load_dwordx4 v[152:155], v47, s[22:23]
	s_movk_i32 s11, 0x227
	v_mul_u32_u24_sdwa v0, v0, s11 dst_sel:DWORD dst_unused:UNUSED_PAD src0_sel:WORD_0 src1_sel:DWORD
	s_movk_i32 s11, 0x121
	v_mul_lo_u16_sdwa v0, v0, s11 dst_sel:DWORD dst_unused:UNUSED_PAD src0_sel:WORD_1 src1_sel:DWORD
	s_waitcnt vmcnt(15) lgkmcnt(9)
	v_mul_f64 v[62:63], v[54:55], v[4:5]
	v_mul_f64 v[4:5], v[52:53], v[4:5]
	v_fmac_f64_e32 v[62:63], v[52:53], v[2:3]
	v_fma_f64 v[84:85], v[54:55], v[2:3], -v[4:5]
	ds_read_b128 v[2:5], v1 offset:5712
	s_waitcnt vmcnt(12) lgkmcnt(6)
	v_mul_f64 v[66:67], v[98:99], v[28:29]
	s_waitcnt vmcnt(11)
	v_mul_f64 v[76:77], v[94:95], v[16:17]
	s_waitcnt vmcnt(10) lgkmcnt(5)
	v_mul_f64 v[70:71], v[102:103], v[20:21]
	v_mul_f64 v[16:17], v[92:93], v[16:17]
	s_waitcnt vmcnt(9) lgkmcnt(4)
	v_mul_f64 v[80:81], v[106:107], v[8:9]
	s_waitcnt vmcnt(8) lgkmcnt(2)
	v_mul_f64 v[72:73], v[114:115], v[12:13]
	v_mul_f64 v[8:9], v[104:105], v[8:9]
	;; [unrolled: 1-line block ×5, first 2 shown]
	v_fmac_f64_e32 v[66:67], v[96:97], v[26:27]
	v_fmac_f64_e32 v[70:71], v[100:101], v[18:19]
	v_fma_f64 v[96:97], v[94:95], v[14:15], -v[16:17]
	v_fmac_f64_e32 v[80:81], v[104:105], v[6:7]
	v_fmac_f64_e32 v[72:73], v[112:113], v[10:11]
	v_fma_f64 v[100:101], v[106:107], v[6:7], -v[8:9]
	v_fma_f64 v[94:95], v[114:115], v[10:11], -v[12:13]
	ds_read_b128 v[6:9], v1 offset:26656
	ds_read_b128 v[10:13], v1 offset:3808
	v_fmac_f64_e32 v[76:77], v[92:93], v[14:15]
	ds_read_b128 v[14:17], v1 offset:28560
	s_waitcnt vmcnt(5) lgkmcnt(3)
	v_mul_f64 v[104:105], v[4:5], v[44:45]
	v_fmac_f64_e32 v[104:105], v[2:3], v[42:43]
	v_mul_f64 v[2:3], v[2:3], v[44:45]
	v_mul_f64 v[82:83], v[110:111], v[36:37]
	v_mul_f64 v[36:37], v[108:109], v[36:37]
	v_fma_f64 v[114:115], v[4:5], v[42:43], -v[2:3]
	s_waitcnt vmcnt(4) lgkmcnt(2)
	v_mul_f64 v[2:3], v[6:7], v[50:51]
	v_fma_f64 v[92:93], v[102:103], v[18:19], -v[20:21]
	v_fma_f64 v[102:103], v[110:111], v[34:35], -v[36:37]
	v_mul_f64 v[106:107], v[8:9], v[50:51]
	v_fma_f64 v[112:113], v[8:9], v[48:49], -v[2:3]
	s_waitcnt vmcnt(3) lgkmcnt(1)
	v_mul_f64 v[110:111], v[12:13], v[126:127]
	v_mul_f64 v[2:3], v[10:11], v[126:127]
	v_fmac_f64_e32 v[106:107], v[6:7], v[48:49]
	v_fmac_f64_e32 v[110:111], v[10:11], v[124:125]
	v_fma_f64 v[124:125], v[12:13], v[124:125], -v[2:3]
	s_waitcnt vmcnt(2) lgkmcnt(0)
	v_mul_f64 v[10:11], v[14:15], v[130:131]
	ds_read_b128 v[6:9], v1
	ds_read_b128 v[2:5], v1 offset:1904
	v_fma_f64 v[126:127], v[16:17], v[128:129], -v[10:11]
	ds_read_b128 v[10:13], v1 offset:30464
	v_fmac_f64_e32 v[82:83], v[108:109], v[34:35]
	v_mul_f64 v[108:109], v[16:17], v[130:131]
	s_waitcnt vmcnt(0) lgkmcnt(1)
	v_mul_f64 v[130:131], v[4:5], v[154:155]
	v_fmac_f64_e32 v[108:109], v[14:15], v[128:129]
	v_fmac_f64_e32 v[130:131], v[2:3], v[152:153]
	s_waitcnt lgkmcnt(0)
	v_mul_f64 v[128:129], v[12:13], v[150:151]
	v_mul_f64 v[2:3], v[2:3], v[154:155]
	v_fmac_f64_e32 v[128:129], v[10:11], v[148:149]
	v_fma_f64 v[140:141], v[4:5], v[152:153], -v[2:3]
	v_mul_f64 v[2:3], v[10:11], v[150:151]
	v_add_f64 v[174:175], v[130:131], -v[128:129]
	v_fma_f64 v[132:133], v[12:13], v[148:149], -v[2:3]
	v_mul_f64 v[68:69], v[90:91], v[24:25]
	v_mul_f64 v[78:79], v[118:119], v[40:41]
	;; [unrolled: 1-line block ×3, first 2 shown]
	v_add_f64 v[160:161], v[110:111], -v[108:109]
	v_mul_f64 v[16:17], v[174:175], s[40:41]
	v_add_f64 v[158:159], v[140:141], v[132:133]
	v_mul_f64 v[24:25], v[88:89], v[24:25]
	v_fmac_f64_e32 v[68:69], v[88:89], v[22:23]
	v_fma_f64 v[88:89], v[98:99], v[26:27], -v[28:29]
	v_fmac_f64_e32 v[78:79], v[116:117], v[38:39]
	v_fma_f64 v[98:99], v[118:119], v[38:39], -v[40:41]
	v_add_f64 v[146:147], v[104:105], -v[106:107]
	v_mul_f64 v[38:39], v[160:161], s[52:53]
	v_add_f64 v[142:143], v[124:125], v[126:127]
	v_fma_f64 v[2:3], s[24:25], v[158:159], v[16:17]
	v_add_f64 v[136:137], v[82:83], -v[78:79]
	v_mul_f64 v[34:35], v[146:147], s[42:43]
	v_add_f64 v[138:139], v[114:115], v[112:113]
	v_fma_f64 v[14:15], s[0:1], v[142:143], v[38:39]
	v_add_f64 v[2:3], v[8:9], v[2:3]
	v_mul_f64 v[64:65], v[58:59], v[32:33]
	v_mul_f64 v[32:33], v[56:57], v[32:33]
	v_fma_f64 v[90:91], v[90:91], v[22:23], -v[24:25]
	v_add_f64 v[134:135], v[80:81], -v[72:73]
	v_add_f64 v[122:123], v[102:103], v[98:99]
	v_mul_f64 v[24:25], v[136:137], s[58:59]
	v_fma_f64 v[36:37], s[18:19], v[138:139], v[34:35]
	v_add_f64 v[2:3], v[14:15], v[2:3]
	v_fma_f64 v[86:87], v[58:59], v[30:31], -v[32:33]
	v_add_f64 v[60:61], v[76:77], -v[70:71]
	v_add_f64 v[120:121], v[100:101], v[94:95]
	v_mul_f64 v[22:23], v[134:135], s[38:39]
	v_fma_f64 v[32:33], s[2:3], v[122:123], v[24:25]
	v_add_f64 v[2:3], v[36:37], v[2:3]
	v_fmac_f64_e32 v[64:65], v[56:57], v[30:31]
	v_add_f64 v[118:119], v[96:97], v[92:93]
	v_mul_f64 v[20:21], v[60:61], s[50:51]
	v_fma_f64 v[30:31], s[16:17], v[120:121], v[22:23]
	v_add_f64 v[2:3], v[32:33], v[2:3]
	v_add_f64 v[184:185], v[140:141], -v[132:133]
	v_add_f64 v[58:59], v[68:69], -v[66:67]
	v_fma_f64 v[28:29], s[4:5], v[118:119], v[20:21]
	v_add_f64 v[2:3], v[30:31], v[2:3]
	v_add_f64 v[182:183], v[124:125], -v[126:127]
	v_add_f64 v[152:153], v[130:131], v[128:129]
	v_mul_f64 v[30:31], v[184:185], s[40:41]
	v_add_f64 v[116:117], v[90:91], v[88:89]
	v_mul_f64 v[18:19], v[58:59], s[36:37]
	v_add_f64 v[2:3], v[28:29], v[2:3]
	v_add_f64 v[172:173], v[114:115], -v[112:113]
	v_add_f64 v[148:149], v[110:111], v[108:109]
	v_mul_f64 v[28:29], v[182:183], s[52:53]
	v_fma_f64 v[32:33], v[152:153], s[24:25], -v[30:31]
	v_fma_f64 v[26:27], s[14:15], v[116:117], v[18:19]
	v_add_f64 v[170:171], v[102:103], -v[98:99]
	v_add_f64 v[144:145], v[104:105], v[106:107]
	v_mul_f64 v[12:13], v[172:173], s[42:43]
	v_fma_f64 v[4:5], v[148:149], s[0:1], -v[28:29]
	v_add_f64 v[32:33], v[6:7], v[32:33]
	v_add_f64 v[2:3], v[26:27], v[2:3]
	v_add_f64 v[166:167], v[100:101], -v[94:95]
	v_add_f64 v[156:157], v[82:83], v[78:79]
	v_mul_f64 v[26:27], v[170:171], s[58:59]
	v_add_f64 v[4:5], v[4:5], v[32:33]
	v_fma_f64 v[32:33], v[144:145], s[18:19], -v[12:13]
	v_add_f64 v[164:165], v[96:97], -v[92:93]
	v_add_f64 v[154:155], v[80:81], v[72:73]
	v_mul_f64 v[14:15], v[166:167], s[38:39]
	v_add_f64 v[4:5], v[32:33], v[4:5]
	v_fma_f64 v[32:33], v[156:157], s[2:3], -v[26:27]
	v_add_f64 v[150:151], v[76:77], v[70:71]
	v_mul_f64 v[10:11], v[164:165], s[50:51]
	v_add_f64 v[4:5], v[32:33], v[4:5]
	v_fma_f64 v[32:33], v[154:155], s[16:17], -v[14:15]
	v_add_f64 v[4:5], v[32:33], v[4:5]
	v_fma_f64 v[32:33], v[150:151], s[4:5], -v[10:11]
	v_add_f64 v[178:179], v[90:91], -v[88:89]
	v_add_f64 v[4:5], v[32:33], v[4:5]
	v_add_f64 v[162:163], v[68:69], v[66:67]
	v_mul_f64 v[32:33], v[178:179], s[36:37]
	v_add_f64 v[180:181], v[62:63], -v[64:65]
	v_fma_f64 v[36:37], v[162:163], s[14:15], -v[32:33]
	v_mul_f64 v[40:41], v[180:181], s[62:63]
	v_add_f64 v[176:177], v[84:85], v[86:87]
	v_add_f64 v[186:187], v[84:85], -v[86:87]
	v_add_f64 v[36:37], v[36:37], v[4:5]
	v_fma_f64 v[4:5], s[12:13], v[176:177], v[40:41]
	v_add_f64 v[168:169], v[62:63], v[64:65]
	v_mul_f64 v[42:43], v[186:187], s[62:63]
	v_add_f64 v[4:5], v[4:5], v[2:3]
	v_fma_f64 v[2:3], v[168:169], s[12:13], -v[42:43]
	v_fma_f64 v[16:17], v[158:159], s[24:25], -v[16:17]
	v_add_f64 v[2:3], v[2:3], v[36:37]
	v_fma_f64 v[36:37], v[142:143], s[0:1], -v[38:39]
	v_add_f64 v[16:17], v[8:9], v[16:17]
	v_add_f64 v[16:17], v[36:37], v[16:17]
	v_fma_f64 v[34:35], v[138:139], s[18:19], -v[34:35]
	v_add_f64 v[16:17], v[34:35], v[16:17]
	v_fma_f64 v[24:25], v[122:123], s[2:3], -v[24:25]
	;; [unrolled: 2-line block ×5, first 2 shown]
	v_fmac_f64_e32 v[30:31], s[24:25], v[152:153]
	v_add_f64 v[16:17], v[18:19], v[16:17]
	v_fmac_f64_e32 v[28:29], s[0:1], v[148:149]
	v_add_f64 v[18:19], v[6:7], v[30:31]
	v_add_f64 v[18:19], v[28:29], v[18:19]
	v_fmac_f64_e32 v[12:13], s[18:19], v[144:145]
	v_add_f64 v[18:19], v[12:13], v[18:19]
	v_fma_f64 v[12:13], v[176:177], s[12:13], -v[40:41]
	v_fmac_f64_e32 v[26:27], s[2:3], v[156:157]
	v_add_f64 v[12:13], v[12:13], v[16:17]
	v_fmac_f64_e32 v[14:15], s[16:17], v[154:155]
	v_add_f64 v[16:17], v[26:27], v[18:19]
	v_mul_f64 v[24:25], v[174:175], s[42:43]
	v_fmac_f64_e32 v[10:11], s[4:5], v[150:151]
	v_add_f64 v[14:15], v[14:15], v[16:17]
	v_mul_f64 v[22:23], v[160:161], s[50:51]
	v_fma_f64 v[16:17], s[18:19], v[158:159], v[24:25]
	v_add_f64 v[10:11], v[10:11], v[14:15]
	v_mul_f64 v[20:21], v[146:147], s[34:35]
	v_fma_f64 v[14:15], s[4:5], v[142:143], v[22:23]
	v_add_f64 v[16:17], v[8:9], v[16:17]
	v_mul_f64 v[18:19], v[136:137], s[60:61]
	v_add_f64 v[14:15], v[14:15], v[16:17]
	v_fma_f64 v[16:17], s[12:13], v[138:139], v[20:21]
	v_add_f64 v[14:15], v[16:17], v[14:15]
	v_fma_f64 v[16:17], s[16:17], v[122:123], v[18:19]
	v_mul_f64 v[26:27], v[134:135], s[26:27]
	v_add_f64 v[14:15], v[16:17], v[14:15]
	v_fma_f64 v[16:17], s[0:1], v[120:121], v[26:27]
	v_mul_f64 v[28:29], v[60:61], s[40:41]
	v_fmac_f64_e32 v[32:33], s[14:15], v[162:163]
	v_add_f64 v[14:15], v[16:17], v[14:15]
	v_fma_f64 v[16:17], s[24:25], v[118:119], v[28:29]
	v_mul_f64 v[30:31], v[58:59], s[58:59]
	v_add_f64 v[10:11], v[32:33], v[10:11]
	v_add_f64 v[14:15], v[16:17], v[14:15]
	v_fma_f64 v[16:17], s[2:3], v[116:117], v[30:31]
	v_mul_f64 v[32:33], v[184:185], s[42:43]
	v_add_f64 v[14:15], v[16:17], v[14:15]
	v_fma_f64 v[16:17], v[152:153], s[18:19], -v[32:33]
	v_mul_f64 v[34:35], v[182:183], s[50:51]
	v_fma_f64 v[24:25], v[158:159], s[18:19], -v[24:25]
	v_add_f64 v[16:17], v[6:7], v[16:17]
	v_fma_f64 v[36:37], v[148:149], s[4:5], -v[34:35]
	v_fma_f64 v[22:23], v[142:143], s[4:5], -v[22:23]
	v_add_f64 v[24:25], v[8:9], v[24:25]
	v_add_f64 v[16:17], v[36:37], v[16:17]
	v_mul_f64 v[36:37], v[172:173], s[34:35]
	v_add_f64 v[22:23], v[22:23], v[24:25]
	v_fma_f64 v[20:21], v[138:139], s[12:13], -v[20:21]
	v_fma_f64 v[38:39], v[144:145], s[12:13], -v[36:37]
	v_add_f64 v[20:21], v[20:21], v[22:23]
	v_fma_f64 v[18:19], v[122:123], s[16:17], -v[18:19]
	v_add_f64 v[16:17], v[38:39], v[16:17]
	v_mul_f64 v[38:39], v[170:171], s[60:61]
	v_add_f64 v[18:19], v[18:19], v[20:21]
	v_fma_f64 v[20:21], v[120:121], s[0:1], -v[26:27]
	v_fma_f64 v[40:41], v[156:157], s[16:17], -v[38:39]
	v_add_f64 v[18:19], v[20:21], v[18:19]
	v_fma_f64 v[20:21], v[118:119], s[24:25], -v[28:29]
	v_fmac_f64_e32 v[42:43], s[12:13], v[168:169]
	v_add_f64 v[16:17], v[40:41], v[16:17]
	v_mul_f64 v[40:41], v[166:167], s[26:27]
	v_add_f64 v[18:19], v[20:21], v[18:19]
	v_fma_f64 v[20:21], v[116:117], s[2:3], -v[30:31]
	v_fmac_f64_e32 v[32:33], s[18:19], v[152:153]
	v_add_f64 v[10:11], v[42:43], v[10:11]
	v_fma_f64 v[42:43], v[154:155], s[0:1], -v[40:41]
	v_add_f64 v[18:19], v[20:21], v[18:19]
	v_fmac_f64_e32 v[34:35], s[4:5], v[148:149]
	v_add_f64 v[20:21], v[6:7], v[32:33]
	v_add_f64 v[16:17], v[42:43], v[16:17]
	v_mul_f64 v[42:43], v[164:165], s[40:41]
	v_add_f64 v[20:21], v[34:35], v[20:21]
	v_fmac_f64_e32 v[36:37], s[12:13], v[144:145]
	v_fma_f64 v[44:45], v[150:151], s[24:25], -v[42:43]
	v_add_f64 v[20:21], v[36:37], v[20:21]
	v_fmac_f64_e32 v[38:39], s[16:17], v[156:157]
	v_add_f64 v[16:17], v[44:45], v[16:17]
	v_mul_f64 v[44:45], v[178:179], s[58:59]
	v_add_f64 v[20:21], v[38:39], v[20:21]
	v_fmac_f64_e32 v[40:41], s[0:1], v[154:155]
	v_fma_f64 v[46:47], v[162:163], s[2:3], -v[44:45]
	v_mul_f64 v[48:49], v[180:181], s[36:37]
	v_add_f64 v[20:21], v[40:41], v[20:21]
	v_fmac_f64_e32 v[42:43], s[24:25], v[150:151]
	v_add_f64 v[46:47], v[46:47], v[16:17]
	v_fma_f64 v[16:17], s[14:15], v[176:177], v[48:49]
	v_mul_f64 v[50:51], v[186:187], s[36:37]
	v_add_f64 v[20:21], v[42:43], v[20:21]
	v_fmac_f64_e32 v[44:45], s[2:3], v[162:163]
	v_add_f64 v[16:17], v[16:17], v[14:15]
	v_fma_f64 v[14:15], v[168:169], s[14:15], -v[50:51]
	v_add_f64 v[22:23], v[44:45], v[20:21]
	v_fma_f64 v[20:21], v[176:177], s[14:15], -v[48:49]
	v_fmac_f64_e32 v[50:51], s[14:15], v[168:169]
	v_mul_f64 v[26:27], v[174:175], s[38:39]
	v_add_f64 v[20:21], v[20:21], v[18:19]
	v_add_f64 v[18:19], v[50:51], v[22:23]
	v_fma_f64 v[22:23], s[16:17], v[158:159], v[26:27]
	v_mul_f64 v[28:29], v[160:161], s[48:49]
	v_add_f64 v[22:23], v[8:9], v[22:23]
	v_fma_f64 v[24:25], s[14:15], v[142:143], v[28:29]
	v_mul_f64 v[30:31], v[146:147], s[26:27]
	;; [unrolled: 3-line block ×7, first 2 shown]
	v_add_f64 v[22:23], v[24:25], v[22:23]
	v_fma_f64 v[24:25], v[152:153], s[16:17], -v[40:41]
	v_mul_f64 v[42:43], v[182:183], s[48:49]
	v_fma_f64 v[26:27], v[158:159], s[16:17], -v[26:27]
	v_add_f64 v[24:25], v[6:7], v[24:25]
	v_fma_f64 v[44:45], v[148:149], s[14:15], -v[42:43]
	v_fma_f64 v[28:29], v[142:143], s[14:15], -v[28:29]
	v_add_f64 v[26:27], v[8:9], v[26:27]
	v_add_f64 v[24:25], v[44:45], v[24:25]
	v_mul_f64 v[44:45], v[172:173], s[26:27]
	v_add_f64 v[26:27], v[28:29], v[26:27]
	v_fma_f64 v[28:29], v[138:139], s[0:1], -v[30:31]
	v_add_f64 v[14:15], v[14:15], v[46:47]
	v_fma_f64 v[46:47], v[144:145], s[0:1], -v[44:45]
	;; [unrolled: 2-line block ×3, first 2 shown]
	v_add_f64 v[24:25], v[46:47], v[24:25]
	v_mul_f64 v[46:47], v[170:171], s[42:43]
	v_add_f64 v[26:27], v[28:29], v[26:27]
	v_fma_f64 v[28:29], v[120:121], s[12:13], -v[34:35]
	v_fma_f64 v[48:49], v[156:157], s[18:19], -v[46:47]
	v_add_f64 v[26:27], v[28:29], v[26:27]
	v_fma_f64 v[28:29], v[118:119], s[2:3], -v[36:37]
	v_add_f64 v[24:25], v[48:49], v[24:25]
	v_mul_f64 v[48:49], v[166:167], s[62:63]
	v_add_f64 v[26:27], v[28:29], v[26:27]
	v_fma_f64 v[28:29], v[116:117], s[24:25], -v[38:39]
	v_fmac_f64_e32 v[40:41], s[16:17], v[152:153]
	v_fma_f64 v[50:51], v[154:155], s[12:13], -v[48:49]
	v_add_f64 v[26:27], v[28:29], v[26:27]
	v_fmac_f64_e32 v[42:43], s[14:15], v[148:149]
	v_add_f64 v[28:29], v[6:7], v[40:41]
	v_add_f64 v[24:25], v[50:51], v[24:25]
	v_mul_f64 v[50:51], v[164:165], s[30:31]
	v_add_f64 v[28:29], v[42:43], v[28:29]
	v_fmac_f64_e32 v[44:45], s[0:1], v[144:145]
	v_fma_f64 v[52:53], v[150:151], s[2:3], -v[50:51]
	v_add_f64 v[28:29], v[44:45], v[28:29]
	v_fmac_f64_e32 v[46:47], s[18:19], v[156:157]
	v_add_f64 v[24:25], v[52:53], v[24:25]
	v_mul_f64 v[52:53], v[178:179], s[40:41]
	v_add_f64 v[28:29], v[46:47], v[28:29]
	v_fmac_f64_e32 v[48:49], s[12:13], v[154:155]
	v_fma_f64 v[54:55], v[162:163], s[24:25], -v[52:53]
	v_mul_f64 v[56:57], v[180:181], s[50:51]
	v_add_f64 v[28:29], v[48:49], v[28:29]
	v_fmac_f64_e32 v[50:51], s[2:3], v[150:151]
	v_add_f64 v[54:55], v[54:55], v[24:25]
	v_fma_f64 v[24:25], s[4:5], v[176:177], v[56:57]
	v_mul_f64 v[188:189], v[186:187], s[50:51]
	v_add_f64 v[28:29], v[50:51], v[28:29]
	v_fmac_f64_e32 v[52:53], s[24:25], v[162:163]
	v_add_f64 v[24:25], v[24:25], v[22:23]
	v_fma_f64 v[22:23], v[168:169], s[4:5], -v[188:189]
	v_add_f64 v[30:31], v[52:53], v[28:29]
	v_fma_f64 v[28:29], v[176:177], s[4:5], -v[56:57]
	v_fmac_f64_e32 v[188:189], s[4:5], v[168:169]
	v_mul_f64 v[34:35], v[174:175], s[36:37]
	v_add_f64 v[28:29], v[28:29], v[26:27]
	v_add_f64 v[26:27], v[188:189], v[30:31]
	v_fma_f64 v[30:31], s[14:15], v[158:159], v[34:35]
	v_mul_f64 v[36:37], v[160:161], s[46:47]
	v_add_f64 v[30:31], v[8:9], v[30:31]
	v_fma_f64 v[32:33], s[18:19], v[142:143], v[36:37]
	v_mul_f64 v[38:39], v[146:147], s[58:59]
	;; [unrolled: 3-line block ×7, first 2 shown]
	v_add_f64 v[30:31], v[32:33], v[30:31]
	v_fma_f64 v[32:33], v[152:153], s[14:15], -v[48:49]
	v_mul_f64 v[50:51], v[182:183], s[46:47]
	v_fma_f64 v[34:35], v[158:159], s[14:15], -v[34:35]
	v_add_f64 v[32:33], v[6:7], v[32:33]
	v_fma_f64 v[52:53], v[148:149], s[18:19], -v[50:51]
	v_fma_f64 v[36:37], v[142:143], s[18:19], -v[36:37]
	v_add_f64 v[34:35], v[8:9], v[34:35]
	v_add_f64 v[32:33], v[52:53], v[32:33]
	v_mul_f64 v[52:53], v[172:173], s[58:59]
	v_add_f64 v[34:35], v[36:37], v[34:35]
	v_fma_f64 v[36:37], v[138:139], s[2:3], -v[38:39]
	v_add_f64 v[22:23], v[22:23], v[54:55]
	v_fma_f64 v[54:55], v[144:145], s[2:3], -v[52:53]
	;; [unrolled: 2-line block ×3, first 2 shown]
	v_add_f64 v[32:33], v[54:55], v[32:33]
	v_mul_f64 v[54:55], v[170:171], s[28:29]
	v_add_f64 v[34:35], v[36:37], v[34:35]
	v_fma_f64 v[36:37], v[120:121], s[24:25], -v[42:43]
	v_fma_f64 v[56:57], v[156:157], s[4:5], -v[54:55]
	v_add_f64 v[34:35], v[36:37], v[34:35]
	v_fma_f64 v[36:37], v[118:119], s[12:13], -v[44:45]
	v_add_f64 v[32:33], v[56:57], v[32:33]
	v_mul_f64 v[56:57], v[166:167], s[40:41]
	v_add_f64 v[34:35], v[36:37], v[34:35]
	v_fma_f64 v[36:37], v[116:117], s[0:1], -v[46:47]
	v_fmac_f64_e32 v[48:49], s[14:15], v[152:153]
	v_fma_f64 v[188:189], v[154:155], s[24:25], -v[56:57]
	v_add_f64 v[34:35], v[36:37], v[34:35]
	v_fmac_f64_e32 v[50:51], s[18:19], v[148:149]
	v_add_f64 v[36:37], v[6:7], v[48:49]
	v_add_f64 v[32:33], v[188:189], v[32:33]
	v_mul_f64 v[188:189], v[164:165], s[62:63]
	v_add_f64 v[36:37], v[50:51], v[36:37]
	v_fmac_f64_e32 v[52:53], s[2:3], v[144:145]
	v_fma_f64 v[190:191], v[150:151], s[12:13], -v[188:189]
	v_add_f64 v[36:37], v[52:53], v[36:37]
	v_fmac_f64_e32 v[54:55], s[4:5], v[156:157]
	v_add_f64 v[32:33], v[190:191], v[32:33]
	v_mul_f64 v[190:191], v[178:179], s[26:27]
	v_add_f64 v[36:37], v[54:55], v[36:37]
	v_fmac_f64_e32 v[56:57], s[24:25], v[154:155]
	v_fma_f64 v[192:193], v[162:163], s[0:1], -v[190:191]
	v_mul_f64 v[194:195], v[180:181], s[38:39]
	v_add_f64 v[36:37], v[56:57], v[36:37]
	v_fmac_f64_e32 v[188:189], s[12:13], v[150:151]
	v_add_f64 v[192:193], v[192:193], v[32:33]
	v_fma_f64 v[32:33], s[16:17], v[176:177], v[194:195]
	v_mul_f64 v[196:197], v[186:187], s[38:39]
	v_add_f64 v[36:37], v[188:189], v[36:37]
	v_fmac_f64_e32 v[190:191], s[0:1], v[162:163]
	v_fma_f64 v[38:39], v[176:177], s[16:17], -v[194:195]
	v_mul_f64 v[42:43], v[174:175], s[34:35]
	v_add_f64 v[32:33], v[32:33], v[30:31]
	v_fma_f64 v[30:31], v[168:169], s[16:17], -v[196:197]
	v_add_f64 v[36:37], v[190:191], v[36:37]
	v_add_f64 v[40:41], v[38:39], v[34:35]
	v_fmac_f64_e32 v[196:197], s[16:17], v[168:169]
	v_fma_f64 v[34:35], s[12:13], v[158:159], v[42:43]
	v_mul_f64 v[44:45], v[160:161], s[40:41]
	v_add_f64 v[38:39], v[196:197], v[36:37]
	v_add_f64 v[34:35], v[8:9], v[34:35]
	v_fma_f64 v[36:37], s[24:25], v[142:143], v[44:45]
	v_mul_f64 v[46:47], v[146:147], s[48:49]
	v_add_f64 v[34:35], v[36:37], v[34:35]
	v_fma_f64 v[36:37], s[14:15], v[138:139], v[46:47]
	v_mul_f64 v[48:49], v[136:137], s[52:53]
	;; [unrolled: 3-line block ×6, first 2 shown]
	v_add_f64 v[34:35], v[36:37], v[34:35]
	v_fma_f64 v[36:37], v[152:153], s[12:13], -v[56:57]
	v_mul_f64 v[188:189], v[182:183], s[40:41]
	v_fma_f64 v[42:43], v[158:159], s[12:13], -v[42:43]
	v_add_f64 v[36:37], v[6:7], v[36:37]
	v_fma_f64 v[190:191], v[148:149], s[24:25], -v[188:189]
	v_fma_f64 v[44:45], v[142:143], s[24:25], -v[44:45]
	v_add_f64 v[42:43], v[8:9], v[42:43]
	v_add_f64 v[36:37], v[190:191], v[36:37]
	v_mul_f64 v[190:191], v[172:173], s[48:49]
	v_add_f64 v[42:43], v[44:45], v[42:43]
	v_fma_f64 v[44:45], v[138:139], s[14:15], -v[46:47]
	v_add_f64 v[30:31], v[30:31], v[192:193]
	v_fma_f64 v[192:193], v[144:145], s[14:15], -v[190:191]
	;; [unrolled: 2-line block ×3, first 2 shown]
	v_add_f64 v[36:37], v[192:193], v[36:37]
	v_mul_f64 v[192:193], v[170:171], s[52:53]
	v_add_f64 v[42:43], v[44:45], v[42:43]
	v_fma_f64 v[44:45], v[120:121], s[4:5], -v[50:51]
	v_fma_f64 v[194:195], v[156:157], s[0:1], -v[192:193]
	v_add_f64 v[42:43], v[44:45], v[42:43]
	v_fma_f64 v[44:45], v[118:119], s[18:19], -v[52:53]
	v_add_f64 v[36:37], v[194:195], v[36:37]
	v_mul_f64 v[194:195], v[166:167], s[28:29]
	v_add_f64 v[42:43], v[44:45], v[42:43]
	v_fma_f64 v[44:45], v[116:117], s[16:17], -v[54:55]
	v_fmac_f64_e32 v[56:57], s[12:13], v[152:153]
	v_fma_f64 v[196:197], v[154:155], s[4:5], -v[194:195]
	v_add_f64 v[42:43], v[44:45], v[42:43]
	v_fmac_f64_e32 v[188:189], s[24:25], v[148:149]
	v_add_f64 v[44:45], v[6:7], v[56:57]
	v_add_f64 v[36:37], v[196:197], v[36:37]
	v_mul_f64 v[196:197], v[164:165], s[42:43]
	v_add_f64 v[44:45], v[188:189], v[44:45]
	v_fmac_f64_e32 v[190:191], s[14:15], v[144:145]
	v_fma_f64 v[198:199], v[150:151], s[18:19], -v[196:197]
	v_add_f64 v[44:45], v[190:191], v[44:45]
	v_fmac_f64_e32 v[192:193], s[0:1], v[156:157]
	v_add_f64 v[36:37], v[198:199], v[36:37]
	v_mul_f64 v[198:199], v[178:179], s[60:61]
	v_add_f64 v[44:45], v[192:193], v[44:45]
	v_fmac_f64_e32 v[194:195], s[4:5], v[154:155]
	v_fma_f64 v[200:201], v[162:163], s[16:17], -v[198:199]
	v_mul_f64 v[202:203], v[180:181], s[58:59]
	v_add_f64 v[44:45], v[194:195], v[44:45]
	v_fmac_f64_e32 v[196:197], s[18:19], v[150:151]
	v_add_f64 v[200:201], v[200:201], v[36:37]
	v_fma_f64 v[36:37], s[2:3], v[176:177], v[202:203]
	v_mul_f64 v[204:205], v[186:187], s[58:59]
	v_add_f64 v[44:45], v[196:197], v[44:45]
	v_fmac_f64_e32 v[198:199], s[16:17], v[162:163]
	v_fma_f64 v[46:47], v[176:177], s[2:3], -v[202:203]
	v_mul_f64 v[50:51], v[174:175], s[28:29]
	v_add_f64 v[36:37], v[36:37], v[34:35]
	v_fma_f64 v[34:35], v[168:169], s[2:3], -v[204:205]
	v_add_f64 v[44:45], v[198:199], v[44:45]
	v_add_f64 v[48:49], v[46:47], v[42:43]
	v_fmac_f64_e32 v[204:205], s[2:3], v[168:169]
	v_fma_f64 v[42:43], s[4:5], v[158:159], v[50:51]
	v_mul_f64 v[52:53], v[160:161], s[38:39]
	v_add_f64 v[46:47], v[204:205], v[44:45]
	v_add_f64 v[42:43], v[8:9], v[42:43]
	v_fma_f64 v[44:45], s[16:17], v[142:143], v[52:53]
	v_mul_f64 v[54:55], v[146:147], s[56:57]
	v_add_f64 v[42:43], v[44:45], v[42:43]
	v_fma_f64 v[44:45], s[24:25], v[138:139], v[54:55]
	v_mul_f64 v[56:57], v[136:137], s[48:49]
	;; [unrolled: 3-line block ×6, first 2 shown]
	v_add_f64 v[42:43], v[44:45], v[42:43]
	v_fma_f64 v[44:45], v[152:153], s[4:5], -v[194:195]
	v_mul_f64 v[196:197], v[182:183], s[38:39]
	v_fma_f64 v[50:51], v[158:159], s[4:5], -v[50:51]
	v_add_f64 v[44:45], v[6:7], v[44:45]
	v_fma_f64 v[198:199], v[148:149], s[16:17], -v[196:197]
	v_fma_f64 v[52:53], v[142:143], s[16:17], -v[52:53]
	v_add_f64 v[50:51], v[8:9], v[50:51]
	v_add_f64 v[44:45], v[198:199], v[44:45]
	v_mul_f64 v[198:199], v[172:173], s[56:57]
	v_add_f64 v[50:51], v[52:53], v[50:51]
	v_fma_f64 v[52:53], v[138:139], s[24:25], -v[54:55]
	v_add_f64 v[34:35], v[34:35], v[200:201]
	v_fma_f64 v[200:201], v[144:145], s[24:25], -v[198:199]
	;; [unrolled: 2-line block ×3, first 2 shown]
	v_add_f64 v[44:45], v[200:201], v[44:45]
	v_mul_f64 v[200:201], v[170:171], s[48:49]
	v_add_f64 v[50:51], v[52:53], v[50:51]
	v_fma_f64 v[52:53], v[120:121], s[2:3], -v[188:189]
	v_fma_f64 v[202:203], v[156:157], s[14:15], -v[200:201]
	v_add_f64 v[50:51], v[52:53], v[50:51]
	v_fma_f64 v[52:53], v[118:119], s[0:1], -v[190:191]
	v_add_f64 v[44:45], v[202:203], v[44:45]
	v_mul_f64 v[202:203], v[166:167], s[58:59]
	v_add_f64 v[50:51], v[52:53], v[50:51]
	v_fma_f64 v[52:53], v[116:117], s[12:13], -v[192:193]
	v_fmac_f64_e32 v[194:195], s[4:5], v[152:153]
	v_fma_f64 v[204:205], v[154:155], s[2:3], -v[202:203]
	v_add_f64 v[50:51], v[52:53], v[50:51]
	v_fmac_f64_e32 v[196:197], s[16:17], v[148:149]
	v_add_f64 v[52:53], v[6:7], v[194:195]
	v_add_f64 v[44:45], v[204:205], v[44:45]
	v_mul_f64 v[204:205], v[164:165], s[26:27]
	v_add_f64 v[52:53], v[196:197], v[52:53]
	v_fmac_f64_e32 v[198:199], s[24:25], v[144:145]
	v_fma_f64 v[206:207], v[150:151], s[0:1], -v[204:205]
	v_add_f64 v[52:53], v[198:199], v[52:53]
	v_fmac_f64_e32 v[200:201], s[14:15], v[156:157]
	v_add_f64 v[44:45], v[206:207], v[44:45]
	v_mul_f64 v[206:207], v[178:179], s[34:35]
	v_add_f64 v[52:53], v[200:201], v[52:53]
	v_fmac_f64_e32 v[202:203], s[2:3], v[154:155]
	v_fma_f64 v[208:209], v[162:163], s[12:13], -v[206:207]
	v_mul_f64 v[210:211], v[180:181], s[42:43]
	v_add_f64 v[52:53], v[202:203], v[52:53]
	v_fmac_f64_e32 v[204:205], s[0:1], v[150:151]
	v_add_f64 v[208:209], v[208:209], v[44:45]
	v_fma_f64 v[44:45], s[18:19], v[176:177], v[210:211]
	v_mul_f64 v[212:213], v[186:187], s[42:43]
	v_add_f64 v[52:53], v[204:205], v[52:53]
	v_fmac_f64_e32 v[206:207], s[12:13], v[162:163]
	v_fma_f64 v[54:55], v[176:177], s[18:19], -v[210:211]
	v_mul_f64 v[188:189], v[174:175], s[30:31]
	v_add_f64 v[44:45], v[44:45], v[42:43]
	v_fma_f64 v[42:43], v[168:169], s[18:19], -v[212:213]
	v_add_f64 v[52:53], v[206:207], v[52:53]
	v_add_f64 v[56:57], v[54:55], v[50:51]
	v_fmac_f64_e32 v[212:213], s[18:19], v[168:169]
	v_fma_f64 v[50:51], s[2:3], v[158:159], v[188:189]
	v_mul_f64 v[190:191], v[160:161], s[34:35]
	v_add_f64 v[54:55], v[212:213], v[52:53]
	v_add_f64 v[50:51], v[8:9], v[50:51]
	v_fma_f64 v[52:53], s[12:13], v[142:143], v[190:191]
	v_mul_f64 v[192:193], v[146:147], s[38:39]
	v_add_f64 v[50:51], v[52:53], v[50:51]
	v_fma_f64 v[52:53], s[16:17], v[138:139], v[192:193]
	v_mul_f64 v[194:195], v[136:137], s[40:41]
	;; [unrolled: 3-line block ×6, first 2 shown]
	v_add_f64 v[50:51], v[52:53], v[50:51]
	v_fma_f64 v[52:53], v[152:153], s[2:3], -v[202:203]
	v_mul_f64 v[204:205], v[182:183], s[34:35]
	v_fma_f64 v[188:189], v[158:159], s[2:3], -v[188:189]
	v_add_f64 v[52:53], v[6:7], v[52:53]
	v_fma_f64 v[206:207], v[148:149], s[12:13], -v[204:205]
	v_fma_f64 v[190:191], v[142:143], s[12:13], -v[190:191]
	v_add_f64 v[188:189], v[8:9], v[188:189]
	v_add_f64 v[52:53], v[206:207], v[52:53]
	v_mul_f64 v[206:207], v[172:173], s[38:39]
	v_add_f64 v[188:189], v[190:191], v[188:189]
	v_fma_f64 v[190:191], v[138:139], s[16:17], -v[192:193]
	v_add_f64 v[42:43], v[42:43], v[208:209]
	v_fma_f64 v[208:209], v[144:145], s[16:17], -v[206:207]
	;; [unrolled: 2-line block ×3, first 2 shown]
	v_add_f64 v[52:53], v[208:209], v[52:53]
	v_mul_f64 v[208:209], v[170:171], s[40:41]
	v_add_f64 v[188:189], v[190:191], v[188:189]
	v_fma_f64 v[190:191], v[120:121], s[18:19], -v[196:197]
	v_fma_f64 v[210:211], v[156:157], s[24:25], -v[208:209]
	v_add_f64 v[188:189], v[190:191], v[188:189]
	v_fma_f64 v[190:191], v[118:119], s[14:15], -v[198:199]
	v_add_f64 v[52:53], v[210:211], v[52:53]
	v_mul_f64 v[210:211], v[166:167], s[46:47]
	v_add_f64 v[188:189], v[190:191], v[188:189]
	v_fma_f64 v[190:191], v[116:117], s[4:5], -v[200:201]
	v_fmac_f64_e32 v[202:203], s[2:3], v[152:153]
	v_fma_f64 v[212:213], v[154:155], s[18:19], -v[210:211]
	v_add_f64 v[188:189], v[190:191], v[188:189]
	v_fmac_f64_e32 v[204:205], s[12:13], v[148:149]
	v_add_f64 v[190:191], v[6:7], v[202:203]
	v_add_f64 v[52:53], v[212:213], v[52:53]
	v_mul_f64 v[212:213], v[164:165], s[48:49]
	v_add_f64 v[190:191], v[204:205], v[190:191]
	v_fmac_f64_e32 v[206:207], s[16:17], v[144:145]
	v_fma_f64 v[214:215], v[150:151], s[14:15], -v[212:213]
	v_add_f64 v[190:191], v[206:207], v[190:191]
	v_fmac_f64_e32 v[208:209], s[24:25], v[156:157]
	v_add_f64 v[52:53], v[214:215], v[52:53]
	v_mul_f64 v[214:215], v[178:179], s[50:51]
	v_add_f64 v[190:191], v[208:209], v[190:191]
	v_fmac_f64_e32 v[210:211], s[18:19], v[154:155]
	v_fma_f64 v[216:217], v[162:163], s[4:5], -v[214:215]
	v_mul_f64 v[218:219], v[180:181], s[52:53]
	v_add_f64 v[190:191], v[210:211], v[190:191]
	v_fmac_f64_e32 v[212:213], s[14:15], v[150:151]
	v_add_f64 v[216:217], v[216:217], v[52:53]
	v_fma_f64 v[52:53], s[0:1], v[176:177], v[218:219]
	v_mul_f64 v[220:221], v[186:187], s[52:53]
	v_add_f64 v[190:191], v[212:213], v[190:191]
	v_fmac_f64_e32 v[214:215], s[4:5], v[162:163]
	v_add_f64 v[52:53], v[52:53], v[50:51]
	v_fma_f64 v[50:51], v[168:169], s[0:1], -v[220:221]
	v_add_f64 v[192:193], v[214:215], v[190:191]
	v_fma_f64 v[190:191], v[176:177], s[0:1], -v[218:219]
	v_fmac_f64_e32 v[220:221], s[0:1], v[168:169]
	v_mul_f64 v[174:175], v[174:175], s[26:27]
	v_add_f64 v[190:191], v[190:191], v[188:189]
	v_add_f64 v[188:189], v[220:221], v[192:193]
	v_mul_f64 v[160:161], v[160:161], s[30:31]
	v_fma_f64 v[192:193], s[0:1], v[158:159], v[174:175]
	v_add_f64 v[192:193], v[8:9], v[192:193]
	v_fma_f64 v[194:195], s[2:3], v[142:143], v[160:161]
	v_mul_f64 v[146:147], v[146:147], s[28:29]
	v_add_f64 v[192:193], v[194:195], v[192:193]
	v_fma_f64 v[194:195], s[4:5], v[138:139], v[146:147]
	v_mul_f64 v[136:137], v[136:137], s[34:35]
	;; [unrolled: 3-line block ×3, first 2 shown]
	v_add_f64 v[192:193], v[194:195], v[192:193]
	v_fma_f64 v[194:195], s[14:15], v[120:121], v[134:135]
	v_fma_f64 v[120:121], v[120:121], s[14:15], -v[134:135]
	v_fma_f64 v[134:135], v[138:139], s[4:5], -v[146:147]
	;; [unrolled: 1-line block ×3, first 2 shown]
	v_add_f64 v[192:193], v[194:195], v[192:193]
	v_mul_f64 v[194:195], v[60:61], s[38:39]
	v_fma_f64 v[122:123], v[122:123], s[12:13], -v[136:137]
	v_fma_f64 v[136:137], v[142:143], s[2:3], -v[160:161]
	v_add_f64 v[138:139], v[8:9], v[138:139]
	v_fma_f64 v[60:61], s[16:17], v[118:119], v[194:195]
	v_add_f64 v[136:137], v[136:137], v[138:139]
	v_add_f64 v[60:61], v[60:61], v[192:193]
	v_mul_f64 v[192:193], v[58:59], s[42:43]
	v_add_f64 v[134:135], v[134:135], v[136:137]
	v_fma_f64 v[58:59], s[18:19], v[116:117], v[192:193]
	v_mul_f64 v[184:185], v[184:185], s[26:27]
	v_add_f64 v[122:123], v[122:123], v[134:135]
	v_add_f64 v[58:59], v[58:59], v[60:61]
	v_fma_f64 v[60:61], v[152:153], s[0:1], -v[184:185]
	v_fma_f64 v[118:119], v[118:119], s[16:17], -v[194:195]
	v_add_f64 v[120:121], v[120:121], v[122:123]
	v_fmac_f64_e32 v[184:185], s[0:1], v[152:153]
	v_add_f64 v[60:61], v[6:7], v[60:61]
	v_add_f64 v[118:119], v[118:119], v[120:121]
	v_add_u32_sdwa v120, v75, v0 dst_sel:DWORD dst_unused:UNUSED_PAD src0_sel:BYTE_0 src1_sel:DWORD
	v_add_f64 v[0:1], v[6:7], v[184:185]
	v_add_f64 v[8:9], v[8:9], v[140:141]
	;; [unrolled: 1-line block ×5, first 2 shown]
	v_mul_f64 v[182:183], v[182:183], s[30:31]
	v_add_f64 v[8:9], v[8:9], v[114:115]
	v_add_f64 v[6:7], v[6:7], v[104:105]
	v_fma_f64 v[196:197], v[148:149], s[2:3], -v[182:183]
	v_mul_f64 v[172:173], v[172:173], s[28:29]
	v_add_f64 v[8:9], v[8:9], v[102:103]
	v_add_f64 v[6:7], v[6:7], v[82:83]
	;; [unrolled: 1-line block ×3, first 2 shown]
	v_fma_f64 v[196:197], v[144:145], s[4:5], -v[172:173]
	v_mul_f64 v[170:171], v[170:171], s[34:35]
	v_fmac_f64_e32 v[182:183], s[2:3], v[148:149]
	v_add_f64 v[8:9], v[8:9], v[100:101]
	v_add_f64 v[6:7], v[6:7], v[80:81]
	v_add_f64 v[60:61], v[196:197], v[60:61]
	v_fma_f64 v[196:197], v[156:157], s[12:13], -v[170:171]
	v_mul_f64 v[166:167], v[166:167], s[36:37]
	v_fmac_f64_e32 v[172:173], s[4:5], v[144:145]
	v_add_f64 v[0:1], v[182:183], v[0:1]
	v_add_f64 v[8:9], v[8:9], v[96:97]
	v_add_f64 v[6:7], v[6:7], v[76:77]
	v_add_f64 v[60:61], v[196:197], v[60:61]
	v_fma_f64 v[196:197], v[154:155], s[14:15], -v[166:167]
	v_mul_f64 v[164:165], v[164:165], s[38:39]
	v_fmac_f64_e32 v[170:171], s[12:13], v[156:157]
	v_add_f64 v[0:1], v[172:173], v[0:1]
	;; [unrolled: 7-line block ×4, first 2 shown]
	v_add_f64 v[8:9], v[8:9], v[86:87]
	v_add_f64 v[6:7], v[6:7], v[64:65]
	;; [unrolled: 1-line block ×3, first 2 shown]
	v_fma_f64 v[60:61], s[24:25], v[176:177], v[180:181]
	v_mul_f64 v[186:187], v[186:187], s[40:41]
	v_fma_f64 v[116:117], v[116:117], s[18:19], -v[192:193]
	v_fmac_f64_e32 v[178:179], s[18:19], v[162:163]
	v_add_f64 v[0:1], v[164:165], v[0:1]
	v_add_f64 v[8:9], v[8:9], v[88:89]
	;; [unrolled: 1-line block ×4, first 2 shown]
	v_fma_f64 v[58:59], v[168:169], s[24:25], -v[186:187]
	v_fma_f64 v[176:177], v[176:177], s[24:25], -v[180:181]
	v_add_f64 v[116:117], v[116:117], v[118:119]
	v_fmac_f64_e32 v[186:187], s[24:25], v[168:169]
	v_mul_lo_u32 v121, s10, v74
	s_mul_i32 s10, s54, s20
	v_add_f64 v[0:1], v[178:179], v[0:1]
	v_add_f64 v[8:9], v[8:9], v[92:93]
	;; [unrolled: 1-line block ×3, first 2 shown]
	s_add_i32 s9, s10, s9
	v_add_f64 v[118:119], v[176:177], v[116:117]
	v_add_f64 v[116:117], v[186:187], v[0:1]
	v_mul_lo_u32 v0, s8, v120
	v_add_f64 v[8:9], v[8:9], v[94:95]
	v_add_f64 v[6:7], v[6:7], v[72:73]
	v_add3_u32 v0, v121, v0, s9
	v_mov_b32_e32 v1, 0
	v_add_f64 v[8:9], v[8:9], v[98:99]
	v_add_f64 v[6:7], v[6:7], v[78:79]
	v_lshl_add_u64 v[74:75], v[0:1], 4, s[6:7]
	v_add_f64 v[8:9], v[8:9], v[112:113]
	v_add_f64 v[6:7], v[6:7], v[106:107]
	v_add_u32_e32 v0, 17, v120
	v_add_f64 v[8:9], v[8:9], v[126:127]
	v_add_f64 v[6:7], v[6:7], v[108:109]
	v_mul_lo_u32 v0, s8, v0
	v_add_f64 v[8:9], v[8:9], v[132:133]
	v_add_f64 v[6:7], v[6:7], v[128:129]
	v_add3_u32 v0, v121, v0, s9
	global_store_dwordx4 v[74:75], v[6:9], off
	v_add_f64 v[50:51], v[50:51], v[216:217]
	v_add_f64 v[58:59], v[58:59], v[196:197]
	v_lshl_add_u64 v[6:7], v[0:1], 4, s[6:7]
	v_add_u32_e32 v0, 34, v120
	v_mul_lo_u32 v0, s8, v0
	v_add3_u32 v0, v121, v0, s9
	global_store_dwordx4 v[6:7], v[116:119], off
	v_lshl_add_u64 v[6:7], v[0:1], 4, s[6:7]
	v_add_u32_e32 v0, 51, v120
	v_mul_lo_u32 v0, s8, v0
	v_add3_u32 v0, v121, v0, s9
	global_store_dwordx4 v[6:7], v[188:191], off
	;; [unrolled: 5-line block ×9, first 2 shown]
	s_nop 1
	v_lshl_add_u64 v[2:3], v[0:1], 4, s[6:7]
	v_add_u32_e32 v0, 0xbb, v120
	v_mul_lo_u32 v0, s8, v0
	v_add3_u32 v0, v121, v0, s9
	global_store_dwordx4 v[2:3], v[14:17], off
	v_lshl_add_u64 v[2:3], v[0:1], 4, s[6:7]
	v_add_u32_e32 v0, 0xcc, v120
	v_mul_lo_u32 v0, s8, v0
	v_add3_u32 v0, v121, v0, s9
	global_store_dwordx4 v[2:3], v[22:25], off
	;; [unrolled: 5-line block ×5, first 2 shown]
	v_lshl_add_u64 v[2:3], v[0:1], 4, s[6:7]
	v_add_u32_e32 v0, 0x110, v120
	v_mul_lo_u32 v0, s8, v0
	v_add3_u32 v0, v121, v0, s9
	v_lshl_add_u64 v[0:1], v[0:1], 4, s[6:7]
	global_store_dwordx4 v[2:3], v[50:53], off
	global_store_dwordx4 v[0:1], v[58:61], off
.LBB0_48:
	s_endpgm
	.section	.rodata,"a",@progbits
	.p2align	6, 0x0
	.amdhsa_kernel fft_rtc_back_len289_factors_17_17_wgs_119_tpt_17_dp_op_CI_CI_sbcc_dirReg_intrinsicReadWrite
		.amdhsa_group_segment_fixed_size 0
		.amdhsa_private_segment_fixed_size 0
		.amdhsa_kernarg_size 112
		.amdhsa_user_sgpr_count 2
		.amdhsa_user_sgpr_dispatch_ptr 0
		.amdhsa_user_sgpr_queue_ptr 0
		.amdhsa_user_sgpr_kernarg_segment_ptr 1
		.amdhsa_user_sgpr_dispatch_id 0
		.amdhsa_user_sgpr_kernarg_preload_length 0
		.amdhsa_user_sgpr_kernarg_preload_offset 0
		.amdhsa_user_sgpr_private_segment_size 0
		.amdhsa_uses_dynamic_stack 0
		.amdhsa_enable_private_segment 0
		.amdhsa_system_sgpr_workgroup_id_x 1
		.amdhsa_system_sgpr_workgroup_id_y 0
		.amdhsa_system_sgpr_workgroup_id_z 0
		.amdhsa_system_sgpr_workgroup_info 0
		.amdhsa_system_vgpr_workitem_id 0
		.amdhsa_next_free_vgpr 222
		.amdhsa_next_free_sgpr 66
		.amdhsa_accum_offset 224
		.amdhsa_reserve_vcc 1
		.amdhsa_float_round_mode_32 0
		.amdhsa_float_round_mode_16_64 0
		.amdhsa_float_denorm_mode_32 3
		.amdhsa_float_denorm_mode_16_64 3
		.amdhsa_dx10_clamp 1
		.amdhsa_ieee_mode 1
		.amdhsa_fp16_overflow 0
		.amdhsa_tg_split 0
		.amdhsa_exception_fp_ieee_invalid_op 0
		.amdhsa_exception_fp_denorm_src 0
		.amdhsa_exception_fp_ieee_div_zero 0
		.amdhsa_exception_fp_ieee_overflow 0
		.amdhsa_exception_fp_ieee_underflow 0
		.amdhsa_exception_fp_ieee_inexact 0
		.amdhsa_exception_int_div_zero 0
	.end_amdhsa_kernel
	.text
.Lfunc_end0:
	.size	fft_rtc_back_len289_factors_17_17_wgs_119_tpt_17_dp_op_CI_CI_sbcc_dirReg_intrinsicReadWrite, .Lfunc_end0-fft_rtc_back_len289_factors_17_17_wgs_119_tpt_17_dp_op_CI_CI_sbcc_dirReg_intrinsicReadWrite
                                        ; -- End function
	.section	.AMDGPU.csdata,"",@progbits
; Kernel info:
; codeLenInByte = 15560
; NumSgprs: 72
; NumVgprs: 222
; NumAgprs: 0
; TotalNumVgprs: 222
; ScratchSize: 0
; MemoryBound: 0
; FloatMode: 240
; IeeeMode: 1
; LDSByteSize: 0 bytes/workgroup (compile time only)
; SGPRBlocks: 8
; VGPRBlocks: 27
; NumSGPRsForWavesPerEU: 72
; NumVGPRsForWavesPerEU: 222
; AccumOffset: 224
; Occupancy: 2
; WaveLimiterHint : 1
; COMPUTE_PGM_RSRC2:SCRATCH_EN: 0
; COMPUTE_PGM_RSRC2:USER_SGPR: 2
; COMPUTE_PGM_RSRC2:TRAP_HANDLER: 0
; COMPUTE_PGM_RSRC2:TGID_X_EN: 1
; COMPUTE_PGM_RSRC2:TGID_Y_EN: 0
; COMPUTE_PGM_RSRC2:TGID_Z_EN: 0
; COMPUTE_PGM_RSRC2:TIDIG_COMP_CNT: 0
; COMPUTE_PGM_RSRC3_GFX90A:ACCUM_OFFSET: 55
; COMPUTE_PGM_RSRC3_GFX90A:TG_SPLIT: 0
	.text
	.p2alignl 6, 3212836864
	.fill 256, 4, 3212836864
	.type	__hip_cuid_f76e3755ecc82e81,@object ; @__hip_cuid_f76e3755ecc82e81
	.section	.bss,"aw",@nobits
	.globl	__hip_cuid_f76e3755ecc82e81
__hip_cuid_f76e3755ecc82e81:
	.byte	0                               ; 0x0
	.size	__hip_cuid_f76e3755ecc82e81, 1

	.ident	"AMD clang version 19.0.0git (https://github.com/RadeonOpenCompute/llvm-project roc-6.4.0 25133 c7fe45cf4b819c5991fe208aaa96edf142730f1d)"
	.section	".note.GNU-stack","",@progbits
	.addrsig
	.addrsig_sym __hip_cuid_f76e3755ecc82e81
	.amdgpu_metadata
---
amdhsa.kernels:
  - .agpr_count:     0
    .args:
      - .actual_access:  read_only
        .address_space:  global
        .offset:         0
        .size:           8
        .value_kind:     global_buffer
      - .address_space:  global
        .offset:         8
        .size:           8
        .value_kind:     global_buffer
      - .offset:         16
        .size:           8
        .value_kind:     by_value
      - .actual_access:  read_only
        .address_space:  global
        .offset:         24
        .size:           8
        .value_kind:     global_buffer
      - .actual_access:  read_only
        .address_space:  global
        .offset:         32
        .size:           8
        .value_kind:     global_buffer
      - .actual_access:  read_only
        .address_space:  global
        .offset:         40
        .size:           8
        .value_kind:     global_buffer
      - .offset:         48
        .size:           8
        .value_kind:     by_value
      - .actual_access:  read_only
        .address_space:  global
        .offset:         56
        .size:           8
        .value_kind:     global_buffer
      - .actual_access:  read_only
        .address_space:  global
        .offset:         64
        .size:           8
        .value_kind:     global_buffer
      - .offset:         72
        .size:           4
        .value_kind:     by_value
      - .actual_access:  read_only
        .address_space:  global
        .offset:         80
        .size:           8
        .value_kind:     global_buffer
      - .actual_access:  read_only
        .address_space:  global
        .offset:         88
        .size:           8
        .value_kind:     global_buffer
      - .actual_access:  read_only
        .address_space:  global
        .offset:         96
        .size:           8
        .value_kind:     global_buffer
      - .actual_access:  write_only
        .address_space:  global
        .offset:         104
        .size:           8
        .value_kind:     global_buffer
    .group_segment_fixed_size: 0
    .kernarg_segment_align: 8
    .kernarg_segment_size: 112
    .language:       OpenCL C
    .language_version:
      - 2
      - 0
    .max_flat_workgroup_size: 119
    .name:           fft_rtc_back_len289_factors_17_17_wgs_119_tpt_17_dp_op_CI_CI_sbcc_dirReg_intrinsicReadWrite
    .private_segment_fixed_size: 0
    .sgpr_count:     72
    .sgpr_spill_count: 0
    .symbol:         fft_rtc_back_len289_factors_17_17_wgs_119_tpt_17_dp_op_CI_CI_sbcc_dirReg_intrinsicReadWrite.kd
    .uniform_work_group_size: 1
    .uses_dynamic_stack: false
    .vgpr_count:     222
    .vgpr_spill_count: 0
    .wavefront_size: 64
amdhsa.target:   amdgcn-amd-amdhsa--gfx950
amdhsa.version:
  - 1
  - 2
...

	.end_amdgpu_metadata
